;; amdgpu-corpus repo=ROCm/rocFFT kind=compiled arch=gfx906 opt=O3
	.text
	.amdgcn_target "amdgcn-amd-amdhsa--gfx906"
	.amdhsa_code_object_version 6
	.protected	fft_rtc_fwd_len289_factors_17_17_wgs_119_tpt_17_dp_ip_CI_sbcc_twdbase8_2step_dirReg_intrinsicRead ; -- Begin function fft_rtc_fwd_len289_factors_17_17_wgs_119_tpt_17_dp_ip_CI_sbcc_twdbase8_2step_dirReg_intrinsicRead
	.globl	fft_rtc_fwd_len289_factors_17_17_wgs_119_tpt_17_dp_ip_CI_sbcc_twdbase8_2step_dirReg_intrinsicRead
	.p2align	8
	.type	fft_rtc_fwd_len289_factors_17_17_wgs_119_tpt_17_dp_ip_CI_sbcc_twdbase8_2step_dirReg_intrinsicRead,@function
fft_rtc_fwd_len289_factors_17_17_wgs_119_tpt_17_dp_ip_CI_sbcc_twdbase8_2step_dirReg_intrinsicRead: ; @fft_rtc_fwd_len289_factors_17_17_wgs_119_tpt_17_dp_ip_CI_sbcc_twdbase8_2step_dirReg_intrinsicRead
; %bb.0:
	s_mov_b64 s[66:67], s[2:3]
	s_mov_b64 s[64:65], s[0:1]
	s_load_dwordx4 s[0:3], s[4:5], 0x18
	s_add_u32 s64, s64, s7
	s_addc_u32 s65, s65, 0
	v_mov_b32_e32 v211, v0
	s_mov_b32 s7, 0
	s_waitcnt lgkmcnt(0)
	s_load_dwordx2 s[14:15], s[0:1], 0x8
	s_mov_b64 s[22:23], 0
	s_waitcnt lgkmcnt(0)
	s_add_u32 s8, s14, -1
	s_addc_u32 s9, s15, -1
	s_add_u32 s10, 0, 0x92481000
	s_addc_u32 s11, 0, 0x64
	s_mul_hi_u32 s13, s10, -7
	s_add_i32 s11, s11, 0x249248c0
	s_sub_i32 s13, s13, s10
	s_mul_i32 s18, s11, -7
	s_mul_i32 s12, s10, -7
	s_add_i32 s13, s13, s18
	s_mul_hi_u32 s16, s11, s12
	s_mul_i32 s17, s11, s12
	s_mul_i32 s19, s10, s13
	s_mul_hi_u32 s12, s10, s12
	s_mul_hi_u32 s18, s10, s13
	s_add_u32 s12, s12, s19
	s_addc_u32 s18, 0, s18
	s_add_u32 s12, s12, s17
	s_mul_hi_u32 s19, s11, s13
	s_addc_u32 s12, s18, s16
	s_addc_u32 s16, s19, 0
	s_mul_i32 s13, s11, s13
	s_add_u32 s12, s12, s13
	v_mov_b32_e32 v0, s12
	s_addc_u32 s13, 0, s16
	v_add_co_u32_e32 v0, vcc, s10, v0
	s_cmp_lg_u64 vcc, 0
	s_addc_u32 s10, s11, s13
	v_readfirstlane_b32 s13, v0
	s_mul_i32 s12, s8, s10
	s_mul_hi_u32 s16, s8, s13
	s_mul_hi_u32 s11, s8, s10
	s_add_u32 s12, s16, s12
	s_addc_u32 s11, 0, s11
	s_mul_hi_u32 s17, s9, s13
	s_mul_i32 s13, s9, s13
	s_add_u32 s12, s12, s13
	s_mul_hi_u32 s16, s9, s10
	s_addc_u32 s11, s11, s17
	s_addc_u32 s12, s16, 0
	s_mul_i32 s10, s9, s10
	s_add_u32 s10, s11, s10
	s_addc_u32 s11, 0, s12
	s_add_u32 s12, s10, 1
	s_addc_u32 s13, s11, 0
	s_add_u32 s16, s10, 2
	s_mul_i32 s18, s11, 7
	s_mul_hi_u32 s19, s10, 7
	s_addc_u32 s17, s11, 0
	s_add_i32 s19, s19, s18
	s_mul_i32 s18, s10, 7
	v_mov_b32_e32 v0, s18
	v_sub_co_u32_e32 v0, vcc, s8, v0
	s_cmp_lg_u64 vcc, 0
	s_subb_u32 s8, s9, s19
	v_subrev_co_u32_e32 v1, vcc, 7, v0
	s_cmp_lg_u64 vcc, 0
	s_subb_u32 s9, s8, 0
	v_readfirstlane_b32 s18, v1
	s_cmp_gt_u32 s18, 6
	s_cselect_b32 s18, -1, 0
	s_cmp_eq_u32 s9, 0
	s_cselect_b32 s9, s18, -1
	s_cmp_lg_u32 s9, 0
	s_cselect_b32 s9, s16, s12
	s_cselect_b32 s12, s17, s13
	v_readfirstlane_b32 s13, v0
	s_cmp_gt_u32 s13, 6
	s_cselect_b32 s13, -1, 0
	s_cmp_eq_u32 s8, 0
	s_cselect_b32 s8, s13, -1
	s_cmp_lg_u32 s8, 0
	s_cselect_b32 s9, s9, s10
	s_cselect_b32 s8, s12, s11
	s_add_u32 s20, s9, 1
	s_addc_u32 s21, s8, 0
	v_mov_b32_e32 v0, s20
	v_mov_b32_e32 v1, s21
	v_cmp_lt_u64_e32 vcc, s[6:7], v[0:1]
	s_cbranch_vccnz .LBB0_2
; %bb.1:
	v_cvt_f32_u32_e32 v0, s20
	s_sub_i32 s8, 0, s20
	s_mov_b32 s23, s7
	v_rcp_iflag_f32_e32 v0, v0
	v_mul_f32_e32 v0, 0x4f7ffffe, v0
	v_cvt_u32_f32_e32 v0, v0
	v_readfirstlane_b32 s9, v0
	s_mul_i32 s8, s8, s9
	s_mul_hi_u32 s8, s9, s8
	s_add_i32 s9, s9, s8
	s_mul_hi_u32 s8, s6, s9
	s_mul_i32 s10, s8, s20
	s_sub_i32 s10, s6, s10
	s_add_i32 s9, s8, 1
	s_sub_i32 s11, s10, s20
	s_cmp_ge_u32 s10, s20
	s_cselect_b32 s8, s9, s8
	s_cselect_b32 s10, s11, s10
	s_add_i32 s9, s8, 1
	s_cmp_ge_u32 s10, s20
	s_cselect_b32 s22, s9, s8
.LBB0_2:
	s_load_dwordx2 s[12:13], s[4:5], 0x58
	s_load_dwordx4 s[8:11], s[2:3], 0x0
	s_load_dwordx2 s[60:61], s[4:5], 0x0
	s_load_dwordx4 s[16:19], s[4:5], 0x8
	s_mul_i32 s4, s22, s21
	s_mul_hi_u32 s5, s22, s20
	s_add_i32 s5, s5, s4
	s_mul_i32 s4, s22, s20
	s_sub_u32 s36, s6, s4
	s_subb_u32 s4, 0, s5
	s_mul_i32 s4, s4, 7
	s_mul_hi_u32 s33, s36, 7
	s_add_i32 s33, s33, s4
	s_mul_i32 s36, s36, 7
	s_waitcnt lgkmcnt(0)
	s_mul_i32 s4, s10, s33
	s_mul_hi_u32 s5, s10, s36
	s_add_i32 s4, s5, s4
	s_mul_i32 s5, s11, s36
	s_add_i32 s37, s4, s5
	v_cmp_lt_u64_e64 s[4:5], s[18:19], 3
	s_mul_i32 s38, s10, s36
	s_and_b64 vcc, exec, s[4:5]
	s_cbranch_vccnz .LBB0_12
; %bb.3:
	s_add_u32 s4, s2, 16
	s_addc_u32 s5, s3, 0
	s_add_u32 s24, s0, 16
	v_mov_b32_e32 v0, s18
	s_addc_u32 s25, s1, 0
	s_mov_b64 s[26:27], 2
	s_mov_b32 s28, 0
	v_mov_b32_e32 v1, s19
.LBB0_4:                                ; =>This Inner Loop Header: Depth=1
	s_load_dwordx2 s[30:31], s[24:25], 0x0
	s_waitcnt lgkmcnt(0)
	s_or_b64 s[0:1], s[22:23], s[30:31]
	s_mov_b32 s29, s1
	s_cmp_lg_u64 s[28:29], 0
	s_cbranch_scc0 .LBB0_9
; %bb.5:                                ;   in Loop: Header=BB0_4 Depth=1
	v_cvt_f32_u32_e32 v2, s30
	v_cvt_f32_u32_e32 v3, s31
	s_sub_u32 s0, 0, s30
	s_subb_u32 s1, 0, s31
	v_mac_f32_e32 v2, 0x4f800000, v3
	v_rcp_f32_e32 v2, v2
	v_mul_f32_e32 v2, 0x5f7ffffc, v2
	v_mul_f32_e32 v3, 0x2f800000, v2
	v_trunc_f32_e32 v3, v3
	v_mac_f32_e32 v2, 0xcf800000, v3
	v_cvt_u32_f32_e32 v3, v3
	v_cvt_u32_f32_e32 v2, v2
	v_readfirstlane_b32 s29, v3
	v_readfirstlane_b32 s34, v2
	s_mul_i32 s35, s0, s29
	s_mul_hi_u32 s40, s0, s34
	s_mul_i32 s39, s1, s34
	s_add_i32 s35, s40, s35
	s_mul_i32 s41, s0, s34
	s_add_i32 s35, s35, s39
	s_mul_hi_u32 s39, s34, s35
	s_mul_i32 s40, s34, s35
	s_mul_hi_u32 s34, s34, s41
	s_add_u32 s34, s34, s40
	s_addc_u32 s39, 0, s39
	s_mul_hi_u32 s42, s29, s41
	s_mul_i32 s41, s29, s41
	s_add_u32 s34, s34, s41
	s_mul_hi_u32 s40, s29, s35
	s_addc_u32 s34, s39, s42
	s_addc_u32 s39, s40, 0
	s_mul_i32 s35, s29, s35
	s_add_u32 s34, s34, s35
	s_addc_u32 s35, 0, s39
	v_add_co_u32_e32 v2, vcc, s34, v2
	s_cmp_lg_u64 vcc, 0
	s_addc_u32 s29, s29, s35
	v_readfirstlane_b32 s35, v2
	s_mul_i32 s34, s0, s29
	s_mul_hi_u32 s39, s0, s35
	s_add_i32 s34, s39, s34
	s_mul_i32 s1, s1, s35
	s_add_i32 s34, s34, s1
	s_mul_i32 s0, s0, s35
	s_mul_hi_u32 s39, s29, s0
	s_mul_i32 s40, s29, s0
	s_mul_i32 s42, s35, s34
	s_mul_hi_u32 s0, s35, s0
	s_mul_hi_u32 s41, s35, s34
	s_add_u32 s0, s0, s42
	s_addc_u32 s35, 0, s41
	s_add_u32 s0, s0, s40
	s_mul_hi_u32 s1, s29, s34
	s_addc_u32 s0, s35, s39
	s_addc_u32 s1, s1, 0
	s_mul_i32 s34, s29, s34
	s_add_u32 s0, s0, s34
	s_addc_u32 s1, 0, s1
	v_add_co_u32_e32 v2, vcc, s0, v2
	s_cmp_lg_u64 vcc, 0
	s_addc_u32 s0, s29, s1
	v_readfirstlane_b32 s34, v2
	s_mul_i32 s29, s22, s0
	s_mul_hi_u32 s35, s22, s34
	s_mul_hi_u32 s1, s22, s0
	s_add_u32 s29, s35, s29
	s_addc_u32 s1, 0, s1
	s_mul_hi_u32 s39, s23, s34
	s_mul_i32 s34, s23, s34
	s_add_u32 s29, s29, s34
	s_mul_hi_u32 s35, s23, s0
	s_addc_u32 s1, s1, s39
	s_addc_u32 s29, s35, 0
	s_mul_i32 s0, s23, s0
	s_add_u32 s34, s1, s0
	s_addc_u32 s29, 0, s29
	s_mul_i32 s0, s30, s29
	s_mul_hi_u32 s1, s30, s34
	s_add_i32 s0, s1, s0
	s_mul_i32 s1, s31, s34
	s_add_i32 s35, s0, s1
	s_mul_i32 s1, s30, s34
	v_mov_b32_e32 v2, s1
	s_sub_i32 s0, s23, s35
	v_sub_co_u32_e32 v2, vcc, s22, v2
	s_cmp_lg_u64 vcc, 0
	s_subb_u32 s39, s0, s31
	v_subrev_co_u32_e64 v3, s[0:1], s30, v2
	s_cmp_lg_u64 s[0:1], 0
	s_subb_u32 s0, s39, 0
	s_cmp_ge_u32 s0, s31
	v_readfirstlane_b32 s39, v3
	s_cselect_b32 s1, -1, 0
	s_cmp_ge_u32 s39, s30
	s_cselect_b32 s39, -1, 0
	s_cmp_eq_u32 s0, s31
	s_cselect_b32 s0, s39, s1
	s_add_u32 s1, s34, 1
	s_addc_u32 s39, s29, 0
	s_add_u32 s40, s34, 2
	s_addc_u32 s41, s29, 0
	s_cmp_lg_u32 s0, 0
	s_cselect_b32 s0, s40, s1
	s_cselect_b32 s1, s41, s39
	s_cmp_lg_u64 vcc, 0
	s_subb_u32 s35, s23, s35
	s_cmp_ge_u32 s35, s31
	v_readfirstlane_b32 s40, v2
	s_cselect_b32 s39, -1, 0
	s_cmp_ge_u32 s40, s30
	s_cselect_b32 s40, -1, 0
	s_cmp_eq_u32 s35, s31
	s_cselect_b32 s35, s40, s39
	s_cmp_lg_u32 s35, 0
	s_cselect_b32 s1, s1, s29
	s_cselect_b32 s0, s0, s34
	s_cbranch_execnz .LBB0_7
.LBB0_6:                                ;   in Loop: Header=BB0_4 Depth=1
	v_cvt_f32_u32_e32 v2, s30
	s_sub_i32 s0, 0, s30
	v_rcp_iflag_f32_e32 v2, v2
	v_mul_f32_e32 v2, 0x4f7ffffe, v2
	v_cvt_u32_f32_e32 v2, v2
	v_readfirstlane_b32 s1, v2
	s_mul_i32 s0, s0, s1
	s_mul_hi_u32 s0, s1, s0
	s_add_i32 s1, s1, s0
	s_mul_hi_u32 s0, s22, s1
	s_mul_i32 s29, s0, s30
	s_sub_i32 s29, s22, s29
	s_add_i32 s1, s0, 1
	s_sub_i32 s34, s29, s30
	s_cmp_ge_u32 s29, s30
	s_cselect_b32 s0, s1, s0
	s_cselect_b32 s29, s34, s29
	s_add_i32 s1, s0, 1
	s_cmp_ge_u32 s29, s30
	s_cselect_b32 s0, s1, s0
	s_mov_b32 s1, s28
.LBB0_7:                                ;   in Loop: Header=BB0_4 Depth=1
	s_mul_i32 s21, s30, s21
	s_mul_hi_u32 s29, s30, s20
	s_add_i32 s21, s29, s21
	s_mul_i32 s29, s31, s20
	s_add_i32 s21, s21, s29
	s_mul_i32 s29, s0, s31
	s_mul_hi_u32 s31, s0, s30
	s_load_dwordx2 s[34:35], s[4:5], 0x0
	s_add_i32 s29, s31, s29
	s_mul_i32 s31, s1, s30
	s_mul_i32 s20, s30, s20
	s_add_i32 s29, s29, s31
	s_mul_i32 s30, s0, s30
	s_sub_u32 s22, s22, s30
	s_subb_u32 s23, s23, s29
	s_waitcnt lgkmcnt(0)
	s_mul_i32 s23, s34, s23
	s_mul_hi_u32 s29, s34, s22
	s_add_i32 s23, s29, s23
	s_mul_i32 s29, s35, s22
	s_add_i32 s23, s23, s29
	s_mul_i32 s22, s34, s22
	s_add_u32 s38, s22, s38
	s_addc_u32 s37, s23, s37
	s_add_u32 s26, s26, 1
	s_addc_u32 s27, s27, 0
	;; [unrolled: 2-line block ×3, first 2 shown]
	v_cmp_ge_u64_e32 vcc, s[26:27], v[0:1]
	s_add_u32 s24, s24, 8
	s_addc_u32 s25, s25, 0
	s_cbranch_vccnz .LBB0_10
; %bb.8:                                ;   in Loop: Header=BB0_4 Depth=1
	s_mov_b64 s[22:23], s[0:1]
	s_branch .LBB0_4
.LBB0_9:                                ;   in Loop: Header=BB0_4 Depth=1
                                        ; implicit-def: $sgpr0_sgpr1
	s_branch .LBB0_6
.LBB0_10:
	v_mov_b32_e32 v0, s20
	v_mov_b32_e32 v1, s21
	v_cmp_lt_u64_e32 vcc, s[6:7], v[0:1]
	s_mov_b64 s[22:23], 0
	s_cbranch_vccnz .LBB0_12
; %bb.11:
	v_cvt_f32_u32_e32 v0, s20
	s_sub_i32 s0, 0, s20
	v_rcp_iflag_f32_e32 v0, v0
	v_mul_f32_e32 v0, 0x4f7ffffe, v0
	v_cvt_u32_f32_e32 v0, v0
	v_readfirstlane_b32 s1, v0
	s_mul_i32 s0, s0, s1
	s_mul_hi_u32 s0, s1, s0
	s_add_i32 s1, s1, s0
	s_mul_hi_u32 s0, s6, s1
	s_mul_i32 s4, s0, s20
	s_sub_i32 s4, s6, s4
	s_add_i32 s1, s0, 1
	s_sub_i32 s5, s4, s20
	s_cmp_ge_u32 s4, s20
	s_cselect_b32 s0, s1, s0
	s_cselect_b32 s4, s5, s4
	s_add_i32 s1, s0, 1
	s_cmp_ge_u32 s4, s20
	s_cselect_b32 s22, s1, s0
.LBB0_12:
	s_lshl_b64 s[0:1], s[18:19], 3
	s_add_u32 s0, s2, s0
	s_addc_u32 s1, s3, s1
	s_load_dwordx2 s[0:1], s[0:1], 0x0
	v_mul_u32_u24_e32 v0, 0x2493, v211
	v_lshrrev_b32_e32 v0, 16, v0
	v_mul_lo_u16_e32 v1, 7, v0
	v_sub_u16_e32 v76, v211, v1
	s_waitcnt lgkmcnt(0)
	s_mul_i32 s1, s1, s22
	s_mul_hi_u32 s2, s0, s22
	s_mul_i32 s0, s0, s22
	s_add_i32 s1, s2, s1
	s_add_u32 s2, s0, s38
	s_addc_u32 s3, s1, s37
	v_mov_b32_e32 v1, s33
	v_add_co_u32_e32 v69, vcc, s36, v76
	v_addc_co_u32_e32 v70, vcc, 0, v1, vcc
	s_add_u32 s0, s36, 7
	v_mov_b32_e32 v1, s14
	s_addc_u32 s1, s33, 0
	v_mov_b32_e32 v2, s15
	v_mad_u64_u32 v[77:78], s[4:5], s10, v76, 0
	v_mul_lo_u32 v3, s8, v0
	v_cmp_le_u64_e32 vcc, s[0:1], v[1:2]
	v_add_u32_e32 v2, 17, v0
	v_mul_lo_u32 v2, s8, v2
	v_cmp_gt_u64_e64 s[0:1], s[14:15], v[69:70]
	v_add_lshl_u32 v1, v77, v3, 4
	s_or_b64 vcc, vcc, s[0:1]
	s_lshl_b32 s4, s2, 4
	v_cndmask_b32_e32 v9, -1, v1, vcc
	s_mov_b32 s15, 0x20000
	s_mov_b32 s14, -2
	v_add_lshl_u32 v1, v77, v2, 4
	v_cndmask_b32_e32 v10, -1, v1, vcc
	buffer_load_dwordx4 v[1:4], v9, s[12:15], s4 offen
	buffer_load_dwordx4 v[5:8], v10, s[12:15], s4 offen
	v_add_u32_e32 v9, 34, v0
	v_mul_lo_u32 v9, s8, v9
	v_add_u32_e32 v13, 51, v0
	v_mul_lo_u32 v13, s8, v13
	v_add_u32_e32 v17, 0x44, v0
	v_add_lshl_u32 v9, v77, v9, 4
	v_cndmask_b32_e32 v9, -1, v9, vcc
	buffer_load_dwordx4 v[9:12], v9, s[12:15], s4 offen
	v_add_lshl_u32 v13, v77, v13, 4
	v_cndmask_b32_e32 v13, -1, v13, vcc
	buffer_load_dwordx4 v[13:16], v13, s[12:15], s4 offen
	v_mul_lo_u32 v17, s8, v17
	v_add_u32_e32 v21, 0x55, v0
	v_mul_lo_u32 v21, s8, v21
	v_add_u32_e32 v25, 0x66, v0
	v_add_lshl_u32 v17, v77, v17, 4
	v_cndmask_b32_e32 v17, -1, v17, vcc
	buffer_load_dwordx4 v[17:20], v17, s[12:15], s4 offen
	v_add_lshl_u32 v21, v77, v21, 4
	v_cndmask_b32_e32 v21, -1, v21, vcc
	buffer_load_dwordx4 v[21:24], v21, s[12:15], s4 offen
	;; [unrolled: 10-line block ×4, first 2 shown]
	v_mul_lo_u32 v29, s8, v36
	v_add_u32_e32 v35, 0xaa, v0
	v_add_u32_e32 v37, 0xcc, v0
	v_add_u32_e32 v38, 0xdd, v0
	v_add_lshl_u32 v29, v77, v29, 4
	v_cndmask_b32_e32 v29, -1, v29, vcc
	buffer_load_dwordx4 v[79:82], v29, s[12:15], s4 offen
	v_mul_lo_u32 v30, s8, v35
	v_add_u32_e32 v39, 0xee, v0
	v_add_u32_e32 v40, 0xff, v0
	s_mov_b32 s18, 0x5d8e7cdc
	v_add_lshl_u32 v30, v77, v30, 4
	v_cndmask_b32_e32 v30, -1, v30, vcc
	buffer_load_dwordx4 v[61:64], v30, s[12:15], s4 offen
	v_mul_lo_u32 v30, s8, v37
	v_mul_lo_u32 v37, s8, v38
	s_mov_b32 s19, 0xbfd71e95
	s_mov_b32 s0, 0x370991
	v_add_lshl_u32 v29, v77, v30, 4
	v_cndmask_b32_e32 v38, -1, v29, vcc
	buffer_load_dwordx4 v[89:92], v38, s[12:15], s4 offen
	v_add_lshl_u32 v37, v77, v37, 4
	v_cndmask_b32_e32 v37, -1, v37, vcc
	buffer_load_dwordx4 v[97:100], v37, s[12:15], s4 offen
	v_mul_lo_u32 v38, s8, v39
	v_mul_lo_u32 v37, s8, v40
	s_mov_b32 s22, 0x2a9d6da3
	s_mov_b32 s30, 0x923c349f
	v_add_lshl_u32 v38, v77, v38, 4
	v_cndmask_b32_e32 v38, -1, v38, vcc
	v_add_lshl_u32 v37, v77, v37, 4
	buffer_load_dwordx4 v[101:104], v38, s[12:15], s4 offen
	v_cndmask_b32_e32 v37, -1, v37, vcc
	buffer_load_dwordx4 v[105:108], v37, s[12:15], s4 offen
	v_add_u32_e32 v38, 0x110, v0
	v_mul_lo_u32 v38, s8, v38
	s_mov_b32 s1, 0x3fedd6d0
	s_mov_b32 s23, 0xbfe58eea
	s_waitcnt vmcnt(14)
	v_add_f64 v[29:30], v[1:2], v[5:6]
	v_add_f64 v[35:36], v[3:4], v[7:8]
	v_add_lshl_u32 v37, v77, v38, 4
	v_cndmask_b32_e32 v37, -1, v37, vcc
	buffer_load_dwordx4 v[109:112], v37, s[12:15], s4 offen
	s_mov_b32 s31, 0xbfeec746
	s_mov_b32 s4, 0x75d4884
	s_mov_b32 s26, 0x7c9e640b
	s_waitcnt vmcnt(14)
	v_add_f64 v[29:30], v[29:30], v[9:10]
	v_add_f64 v[35:36], v[35:36], v[11:12]
	s_mov_b32 s28, 0xeb564b22
	s_mov_b32 s20, 0xc61f0d01
	s_mov_b32 s34, 0x6c9a05f6
	s_mov_b32 s36, 0x4363dd80
	s_mov_b32 s40, 0xacd6c6b4
	s_mov_b32 s5, 0x3fe7a5f6
	s_waitcnt vmcnt(13)
	v_add_f64 v[29:30], v[29:30], v[13:14]
	v_add_f64 v[35:36], v[35:36], v[15:16]
	s_mov_b32 s27, 0xbfeca52d
	s_mov_b32 s29, 0xbfefdd0d
	s_mov_b32 s21, 0xbfd183b1
	;; [unrolled: 9-line block ×4, first 2 shown]
	s_mov_b32 s43, 0xbfef7484
	s_mov_b32 s45, 0x3fe0d888
	;; [unrolled: 1-line block ×3, first 2 shown]
	s_waitcnt vmcnt(10)
	v_add_f64 v[29:30], v[29:30], v[25:26]
	v_add_f64 v[35:36], v[35:36], v[27:28]
	s_waitcnt vmcnt(7)
	v_add_f64 v[39:40], v[43:44], v[49:50]
	v_add_f64 v[37:38], v[45:46], v[51:52]
	v_add_f64 v[47:48], v[45:46], -v[51:52]
	s_mov_b32 s47, 0x3feec746
	s_mov_b32 s46, s30
	;; [unrolled: 1-line block ×3, first 2 shown]
	v_add_f64 v[29:30], v[29:30], v[31:32]
	v_add_f64 v[35:36], v[35:36], v[33:34]
	s_waitcnt vmcnt(6)
	v_add_f64 v[59:60], v[25:26], -v[79:80]
	s_mov_b32 s48, s26
	s_mov_b32 s51, 0x3fd71e95
	;; [unrolled: 1-line block ×4, first 2 shown]
	s_waitcnt vmcnt(5)
	v_add_f64 v[41:42], v[31:32], v[61:62]
	v_add_f64 v[29:30], v[29:30], v[43:44]
	;; [unrolled: 1-line block ×3, first 2 shown]
	v_add_f64 v[43:44], v[43:44], -v[49:50]
	v_add_f64 v[53:54], v[31:32], -v[61:62]
	v_add_f64 v[45:46], v[33:34], v[63:64]
	v_add_f64 v[55:56], v[33:34], -v[63:64]
	s_waitcnt vmcnt(4)
	v_add_f64 v[57:58], v[23:24], v[91:92]
	v_add_f64 v[65:66], v[21:22], -v[89:90]
	v_add_f64 v[29:30], v[29:30], v[49:50]
	v_add_f64 v[35:36], v[35:36], v[51:52]
	;; [unrolled: 1-line block ×3, first 2 shown]
	v_add_f64 v[72:73], v[23:24], -v[91:92]
	v_add_f64 v[51:52], v[27:28], v[81:82]
	s_waitcnt vmcnt(3)
	v_add_f64 v[70:71], v[17:18], v[97:98]
	v_add_f64 v[67:68], v[19:20], v[99:100]
	v_add_f64 v[83:84], v[19:20], -v[99:100]
	v_add_f64 v[25:26], v[29:30], v[61:62]
	v_add_f64 v[29:30], v[35:36], v[63:64]
	;; [unrolled: 1-line block ×3, first 2 shown]
	v_add_f64 v[63:64], v[27:28], -v[81:82]
	s_waitcnt vmcnt(2)
	v_add_f64 v[87:88], v[13:14], -v[101:102]
	v_add_f64 v[74:75], v[15:16], v[103:104]
	s_waitcnt vmcnt(1)
	v_add_f64 v[85:86], v[11:12], v[107:108]
	v_add_f64 v[93:94], v[9:10], -v[105:106]
	v_add_f64 v[21:22], v[25:26], v[79:80]
	v_add_f64 v[23:24], v[29:30], v[81:82]
	v_add_f64 v[79:80], v[17:18], -v[97:98]
	v_add_f64 v[81:82], v[13:14], v[101:102]
	v_add_f64 v[95:96], v[11:12], -v[107:108]
	s_waitcnt vmcnt(0)
	v_add_f64 v[19:20], v[5:6], -v[109:110]
	v_mul_f64 v[155:156], v[87:88], s[26:27]
	v_mul_f64 v[141:142], v[93:94], s[22:23]
	v_add_f64 v[13:14], v[21:22], v[89:90]
	v_add_f64 v[17:18], v[23:24], v[91:92]
	v_add_f64 v[91:92], v[15:16], -v[103:104]
	v_add_f64 v[89:90], v[9:10], v[105:106]
	v_add_f64 v[15:16], v[7:8], -v[111:112]
	v_mul_f64 v[113:114], v[19:20], s[28:29]
	v_mul_f64 v[115:116], v[19:20], s[30:31]
	;; [unrolled: 1-line block ×3, first 2 shown]
	v_add_f64 v[9:10], v[13:14], v[97:98]
	v_add_f64 v[11:12], v[17:18], v[99:100]
	;; [unrolled: 1-line block ×4, first 2 shown]
	v_mul_f64 v[5:6], v[15:16], s[18:19]
	v_mul_f64 v[7:8], v[15:16], s[22:23]
	;; [unrolled: 1-line block ×4, first 2 shown]
	v_add_f64 v[9:10], v[9:10], v[101:102]
	v_add_f64 v[11:12], v[11:12], v[103:104]
	v_mul_f64 v[23:24], v[15:16], s[28:29]
	v_mul_f64 v[27:28], v[15:16], s[34:35]
	v_fma_f64 v[29:30], v[13:14], s[0:1], -v[5:6]
	v_fma_f64 v[31:32], v[13:14], s[0:1], v[5:6]
	v_fma_f64 v[33:34], v[13:14], s[4:5], -v[7:8]
	v_fma_f64 v[99:100], v[13:14], s[20:21], -v[25:26]
	v_add_f64 v[5:6], v[9:10], v[105:106]
	v_add_f64 v[9:10], v[11:12], v[107:108]
	v_fma_f64 v[11:12], v[13:14], s[4:5], v[7:8]
	v_mul_f64 v[105:106], v[19:20], s[18:19]
	v_fma_f64 v[35:36], v[13:14], s[6:7], -v[21:22]
	v_fma_f64 v[21:22], v[13:14], s[6:7], v[21:22]
	v_fma_f64 v[97:98], v[13:14], s[14:15], -v[23:24]
	v_fma_f64 v[23:24], v[13:14], s[14:15], v[23:24]
	v_add_f64 v[5:6], v[5:6], v[109:110]
	v_add_f64 v[7:8], v[9:10], v[111:112]
	v_fma_f64 v[9:10], v[13:14], s[20:21], v[25:26]
	v_mul_f64 v[25:26], v[15:16], s[36:37]
	v_mul_f64 v[15:16], v[15:16], s[40:41]
	v_fma_f64 v[101:102], v[13:14], s[24:25], -v[27:28]
	v_fma_f64 v[27:28], v[13:14], s[24:25], v[27:28]
	v_mul_f64 v[107:108], v[19:20], s[22:23]
	v_mul_f64 v[109:110], v[19:20], s[26:27]
	;; [unrolled: 1-line block ×4, first 2 shown]
	v_fma_f64 v[103:104], v[13:14], s[38:39], -v[25:26]
	v_fma_f64 v[25:26], v[13:14], s[38:39], v[25:26]
	v_fma_f64 v[125:126], v[13:14], s[42:43], -v[15:16]
	v_fma_f64 v[13:14], v[13:14], s[42:43], v[15:16]
	v_fma_f64 v[15:16], v[17:18], s[0:1], v[105:106]
	v_mul_f64 v[139:140], v[95:96], s[22:23]
	v_fma_f64 v[105:106], v[17:18], s[0:1], -v[105:106]
	v_fma_f64 v[111:112], v[17:18], s[4:5], v[107:108]
	v_fma_f64 v[107:108], v[17:18], s[4:5], -v[107:108]
	v_fma_f64 v[117:118], v[17:18], s[6:7], v[109:110]
	;; [unrolled: 2-line block ×7, first 2 shown]
	v_fma_f64 v[17:18], v[17:18], s[42:43], -v[19:20]
	v_add_f64 v[19:20], v[1:2], v[29:30]
	v_add_f64 v[15:16], v[3:4], v[15:16]
	v_add_f64 v[143:144], v[1:2], v[33:34]
	v_add_f64 v[149:150], v[1:2], v[35:36]
	v_fma_f64 v[33:34], v[89:90], s[4:5], -v[139:140]
	v_fma_f64 v[35:36], v[85:86], s[4:5], v[141:142]
	v_mul_f64 v[153:154], v[91:92], s[26:27]
	v_add_f64 v[29:30], v[1:2], v[31:32]
	v_add_f64 v[31:32], v[3:4], v[105:106]
	;; [unrolled: 1-line block ×3, first 2 shown]
	v_fma_f64 v[105:106], v[74:75], s[6:7], v[155:156]
	v_mul_f64 v[163:164], v[83:84], s[28:29]
	v_add_f64 v[19:20], v[33:34], v[19:20]
	v_add_f64 v[15:16], v[35:36], v[15:16]
	v_fma_f64 v[97:98], v[81:82], s[6:7], -v[153:154]
	v_mul_f64 v[165:166], v[79:80], s[28:29]
	v_add_f64 v[167:168], v[1:2], v[23:24]
	v_add_f64 v[35:36], v[3:4], v[127:128]
	v_mul_f64 v[127:128], v[72:73], s[30:31]
	v_fma_f64 v[23:24], v[70:71], s[14:15], -v[163:164]
	v_mul_f64 v[171:172], v[65:66], s[30:31]
	v_add_f64 v[15:16], v[105:106], v[15:16]
	v_add_f64 v[19:20], v[97:98], v[19:20]
	v_fma_f64 v[97:98], v[67:68], s[14:15], v[165:166]
	v_add_f64 v[121:122], v[1:2], v[9:10]
	v_add_f64 v[119:120], v[3:4], v[129:130]
	v_mul_f64 v[129:130], v[63:64], s[34:35]
	v_mul_f64 v[173:174], v[59:60], s[34:35]
	v_add_f64 v[161:162], v[3:4], v[123:124]
	v_add_f64 v[169:170], v[3:4], v[113:114]
	;; [unrolled: 1-line block ×4, first 2 shown]
	v_fma_f64 v[19:20], v[61:62], s[20:21], -v[127:128]
	v_fma_f64 v[23:24], v[57:58], s[20:21], v[171:172]
	v_add_f64 v[123:124], v[3:4], v[115:116]
	v_add_f64 v[113:114], v[1:2], v[27:28]
	;; [unrolled: 1-line block ×3, first 2 shown]
	v_mul_f64 v[27:28], v[55:56], s[36:37]
	v_mul_f64 v[131:132], v[53:54], s[36:37]
	v_add_f64 v[157:158], v[3:4], v[109:110]
	v_add_f64 v[9:10], v[19:20], v[9:10]
	;; [unrolled: 1-line block ×3, first 2 shown]
	v_fma_f64 v[19:20], v[49:50], s[24:25], -v[129:130]
	v_fma_f64 v[23:24], v[51:52], s[24:25], v[173:174]
	v_add_f64 v[109:110], v[1:2], v[103:104]
	v_add_f64 v[105:106], v[1:2], v[25:26]
	;; [unrolled: 1-line block ×3, first 2 shown]
	v_mul_f64 v[25:26], v[47:48], s[40:41]
	v_mul_f64 v[125:126], v[43:44], s[40:41]
	v_add_f64 v[145:146], v[3:4], v[111:112]
	v_add_f64 v[9:10], v[19:20], v[9:10]
	;; [unrolled: 1-line block ×3, first 2 shown]
	v_fma_f64 v[19:20], v[41:42], s[38:39], -v[27:28]
	v_fma_f64 v[23:24], v[45:46], s[38:39], v[131:132]
	v_add_f64 v[11:12], v[1:2], v[11:12]
	v_add_f64 v[147:148], v[3:4], v[107:108]
	;; [unrolled: 1-line block ×11, first 2 shown]
	v_fma_f64 v[1:2], v[89:90], s[4:5], v[139:140]
	v_fma_f64 v[3:4], v[85:86], s[4:5], -v[141:142]
	v_add_f64 v[9:10], v[19:20], v[9:10]
	v_add_f64 v[13:14], v[23:24], v[15:16]
	v_fma_f64 v[15:16], v[39:40], s[42:43], -v[25:26]
	v_fma_f64 v[17:18], v[37:38], s[42:43], v[125:126]
	v_mul_f64 v[19:20], v[95:96], s[28:29]
	v_mul_f64 v[23:24], v[93:94], s[28:29]
	v_add_f64 v[29:30], v[1:2], v[29:30]
	v_add_f64 v[31:32], v[3:4], v[31:32]
	v_fma_f64 v[133:134], v[81:82], s[6:7], v[153:154]
	v_fma_f64 v[135:136], v[74:75], s[6:7], -v[155:156]
	v_add_f64 v[1:2], v[15:16], v[9:10]
	v_add_f64 v[3:4], v[17:18], v[13:14]
	v_fma_f64 v[9:10], v[89:90], s[14:15], -v[19:20]
	v_fma_f64 v[13:14], v[85:86], s[14:15], v[23:24]
	v_mul_f64 v[15:16], v[91:92], s[34:35]
	v_mul_f64 v[17:18], v[87:88], s[34:35]
	v_add_f64 v[29:30], v[133:134], v[29:30]
	v_add_f64 v[31:32], v[135:136], v[31:32]
	;; [unrolled: 10-line block ×5, first 2 shown]
	v_fma_f64 v[27:28], v[41:42], s[38:39], v[27:28]
	v_fma_f64 v[127:128], v[45:46], s[38:39], -v[131:132]
	v_add_f64 v[9:10], v[133:134], v[9:10]
	v_add_f64 v[13:14], v[135:136], v[13:14]
	v_fma_f64 v[129:130], v[49:50], s[20:21], -v[137:138]
	v_fma_f64 v[131:132], v[51:52], s[20:21], v[153:154]
	v_mul_f64 v[133:134], v[55:56], s[48:49]
	v_mul_f64 v[135:136], v[53:54], s[48:49]
	v_fma_f64 v[19:20], v[89:90], s[14:15], v[19:20]
	v_fma_f64 v[23:24], v[85:86], s[14:15], -v[23:24]
	v_add_f64 v[27:28], v[27:28], v[29:30]
	v_add_f64 v[29:30], v[127:128], v[31:32]
	;; [unrolled: 1-line block ×4, first 2 shown]
	v_fma_f64 v[31:32], v[41:42], s[6:7], -v[133:134]
	v_fma_f64 v[127:128], v[45:46], s[6:7], v[135:136]
	v_mul_f64 v[129:130], v[47:48], s[50:51]
	v_mul_f64 v[131:132], v[43:44], s[50:51]
	v_add_f64 v[11:12], v[19:20], v[11:12]
	v_add_f64 v[19:20], v[23:24], v[147:148]
	v_fma_f64 v[15:16], v[81:82], s[24:25], v[15:16]
	v_fma_f64 v[17:18], v[74:75], s[24:25], -v[17:18]
	v_fma_f64 v[23:24], v[39:40], s[42:43], v[25:26]
	v_fma_f64 v[25:26], v[37:38], s[42:43], -v[125:126]
	v_add_f64 v[31:32], v[31:32], v[9:10]
	v_add_f64 v[13:14], v[127:128], v[13:14]
	v_fma_f64 v[125:126], v[39:40], s[0:1], -v[129:130]
	v_fma_f64 v[127:128], v[37:38], s[0:1], v[131:132]
	v_add_f64 v[15:16], v[15:16], v[11:12]
	v_add_f64 v[147:148], v[17:18], v[19:20]
	v_fma_f64 v[141:142], v[70:71], s[42:43], v[141:142]
	v_fma_f64 v[143:144], v[67:68], s[42:43], -v[143:144]
	v_add_f64 v[9:10], v[23:24], v[27:28]
	v_add_f64 v[11:12], v[25:26], v[29:30]
	v_mul_f64 v[23:24], v[95:96], s[34:35]
	v_mul_f64 v[25:26], v[93:94], s[34:35]
	s_mov_b32 s52, s40
	v_add_f64 v[17:18], v[125:126], v[31:32]
	v_add_f64 v[19:20], v[127:128], v[13:14]
	;; [unrolled: 1-line block ×4, first 2 shown]
	v_fma_f64 v[27:28], v[61:62], s[38:39], v[139:140]
	v_fma_f64 v[29:30], v[57:58], s[38:39], -v[145:146]
	v_fma_f64 v[31:32], v[89:90], s[24:25], -v[23:24]
	v_fma_f64 v[125:126], v[85:86], s[24:25], v[25:26]
	v_mul_f64 v[127:128], v[91:92], s[52:53]
	v_mul_f64 v[139:140], v[87:88], s[52:53]
	;; [unrolled: 1-line block ×4, first 2 shown]
	v_add_f64 v[13:14], v[27:28], v[13:14]
	v_add_f64 v[15:16], v[29:30], v[15:16]
	v_fma_f64 v[27:28], v[49:50], s[20:21], v[137:138]
	v_fma_f64 v[29:30], v[51:52], s[20:21], -v[153:154]
	v_add_f64 v[31:32], v[31:32], v[149:150]
	v_add_f64 v[125:126], v[125:126], v[151:152]
	v_fma_f64 v[137:138], v[81:82], s[42:43], -v[127:128]
	v_fma_f64 v[141:142], v[74:75], s[42:43], v[139:140]
	s_mov_b32 s55, 0x3fe58eea
	s_mov_b32 s54, s22
	v_add_f64 v[13:14], v[27:28], v[13:14]
	v_add_f64 v[15:16], v[29:30], v[15:16]
	v_fma_f64 v[27:28], v[41:42], s[6:7], v[133:134]
	v_fma_f64 v[29:30], v[45:46], s[6:7], -v[135:136]
	v_add_f64 v[31:32], v[137:138], v[31:32]
	v_add_f64 v[125:126], v[141:142], v[125:126]
	v_fma_f64 v[133:134], v[70:71], s[20:21], -v[143:144]
	v_fma_f64 v[135:136], v[67:68], s[20:21], v[145:146]
	v_mul_f64 v[137:138], v[72:73], s[54:55]
	v_mul_f64 v[141:142], v[65:66], s[54:55]
	v_add_f64 v[13:14], v[27:28], v[13:14]
	v_add_f64 v[15:16], v[29:30], v[15:16]
	v_fma_f64 v[27:28], v[39:40], s[0:1], v[129:130]
	v_fma_f64 v[29:30], v[37:38], s[0:1], -v[131:132]
	v_add_f64 v[31:32], v[133:134], v[31:32]
	v_add_f64 v[125:126], v[135:136], v[125:126]
	v_fma_f64 v[129:130], v[61:62], s[4:5], -v[137:138]
	v_fma_f64 v[131:132], v[57:58], s[4:5], v[141:142]
	v_mul_f64 v[133:134], v[63:64], s[18:19]
	v_mul_f64 v[135:136], v[59:60], s[18:19]
	v_add_f64 v[13:14], v[27:28], v[13:14]
	v_add_f64 v[15:16], v[29:30], v[15:16]
	v_fma_f64 v[23:24], v[89:90], s[24:25], v[23:24]
	v_fma_f64 v[25:26], v[85:86], s[24:25], -v[25:26]
	v_add_f64 v[27:28], v[129:130], v[31:32]
	v_add_f64 v[29:30], v[131:132], v[125:126]
	v_fma_f64 v[31:32], v[49:50], s[0:1], -v[133:134]
	v_fma_f64 v[125:126], v[51:52], s[0:1], v[135:136]
	v_mul_f64 v[129:130], v[55:56], s[28:29]
	v_mul_f64 v[131:132], v[53:54], s[28:29]
	v_add_f64 v[21:22], v[23:24], v[21:22]
	v_add_f64 v[23:24], v[25:26], v[157:158]
	v_fma_f64 v[25:26], v[81:82], s[42:43], v[127:128]
	v_fma_f64 v[127:128], v[74:75], s[42:43], -v[139:140]
	v_add_f64 v[27:28], v[31:32], v[27:28]
	v_add_f64 v[29:30], v[125:126], v[29:30]
	v_fma_f64 v[31:32], v[41:42], s[14:15], -v[129:130]
	v_fma_f64 v[125:126], v[45:46], s[14:15], v[131:132]
	v_mul_f64 v[139:140], v[47:48], s[36:37]
	v_mul_f64 v[147:148], v[43:44], s[36:37]
	v_add_f64 v[21:22], v[25:26], v[21:22]
	v_add_f64 v[23:24], v[127:128], v[23:24]
	v_fma_f64 v[25:26], v[70:71], s[20:21], v[143:144]
	v_fma_f64 v[127:128], v[67:68], s[20:21], -v[145:146]
	v_add_f64 v[27:28], v[31:32], v[27:28]
	v_add_f64 v[29:30], v[125:126], v[29:30]
	v_fma_f64 v[31:32], v[39:40], s[38:39], -v[139:140]
	v_fma_f64 v[125:126], v[37:38], s[38:39], v[147:148]
	v_mul_f64 v[143:144], v[95:96], s[40:41]
	v_mul_f64 v[145:146], v[93:94], s[40:41]
	v_add_f64 v[25:26], v[25:26], v[21:22]
	v_add_f64 v[127:128], v[127:128], v[23:24]
	v_fma_f64 v[137:138], v[61:62], s[4:5], v[137:138]
	v_fma_f64 v[141:142], v[57:58], s[4:5], -v[141:142]
	v_add_f64 v[21:22], v[31:32], v[27:28]
	v_add_f64 v[23:24], v[125:126], v[29:30]
	v_fma_f64 v[27:28], v[89:90], s[42:43], -v[143:144]
	v_fma_f64 v[29:30], v[85:86], s[42:43], v[145:146]
	v_mul_f64 v[31:32], v[91:92], s[46:47]
	v_mul_f64 v[125:126], v[87:88], s[46:47]
	v_add_f64 v[25:26], v[137:138], v[25:26]
	v_add_f64 v[127:128], v[141:142], v[127:128]
	v_fma_f64 v[133:134], v[49:50], s[0:1], v[133:134]
	v_fma_f64 v[135:136], v[51:52], s[0:1], -v[135:136]
	v_add_f64 v[27:28], v[27:28], v[159:160]
	v_add_f64 v[29:30], v[29:30], v[161:162]
	v_fma_f64 v[137:138], v[81:82], s[20:21], -v[31:32]
	v_fma_f64 v[141:142], v[74:75], s[20:21], v[125:126]
	v_mul_f64 v[149:150], v[83:84], s[50:51]
	v_mul_f64 v[151:152], v[79:80], s[50:51]
	v_add_f64 v[25:26], v[133:134], v[25:26]
	v_add_f64 v[127:128], v[135:136], v[127:128]
	v_fma_f64 v[129:130], v[41:42], s[14:15], v[129:130]
	v_fma_f64 v[131:132], v[45:46], s[14:15], -v[131:132]
	v_add_f64 v[27:28], v[137:138], v[27:28]
	v_add_f64 v[29:30], v[141:142], v[29:30]
	v_fma_f64 v[133:134], v[70:71], s[0:1], -v[149:150]
	v_fma_f64 v[135:136], v[67:68], s[0:1], v[151:152]
	v_mul_f64 v[137:138], v[72:73], s[26:27]
	v_mul_f64 v[141:142], v[65:66], s[26:27]
	v_add_f64 v[25:26], v[129:130], v[25:26]
	v_add_f64 v[127:128], v[131:132], v[127:128]
	v_fma_f64 v[129:130], v[39:40], s[38:39], v[139:140]
	v_fma_f64 v[131:132], v[37:38], s[38:39], -v[147:148]
	v_add_f64 v[133:134], v[133:134], v[27:28]
	v_add_f64 v[29:30], v[135:136], v[29:30]
	v_fma_f64 v[135:136], v[61:62], s[6:7], -v[137:138]
	v_fma_f64 v[143:144], v[89:90], s[42:43], v[143:144]
	v_fma_f64 v[145:146], v[85:86], s[42:43], -v[145:146]
	v_fma_f64 v[139:140], v[57:58], s[6:7], v[141:142]
	v_add_f64 v[25:26], v[129:130], v[25:26]
	v_add_f64 v[27:28], v[131:132], v[127:128]
	v_mul_f64 v[127:128], v[63:64], s[36:37]
	v_mul_f64 v[129:130], v[59:60], s[36:37]
	v_add_f64 v[131:132], v[135:136], v[133:134]
	v_add_f64 v[133:134], v[143:144], v[167:168]
	;; [unrolled: 1-line block ×3, first 2 shown]
	v_fma_f64 v[31:32], v[81:82], s[20:21], v[31:32]
	v_fma_f64 v[125:126], v[74:75], s[20:21], -v[125:126]
	s_mov_b32 s57, 0x3fe9895b
	s_mov_b32 s56, s34
	v_add_f64 v[29:30], v[139:140], v[29:30]
	v_fma_f64 v[139:140], v[49:50], s[38:39], -v[127:128]
	v_fma_f64 v[143:144], v[51:52], s[38:39], v[129:130]
	v_mul_f64 v[145:146], v[55:56], s[56:57]
	v_mul_f64 v[147:148], v[53:54], s[56:57]
	v_add_f64 v[31:32], v[31:32], v[133:134]
	v_add_f64 v[125:126], v[125:126], v[135:136]
	v_fma_f64 v[133:134], v[70:71], s[0:1], v[149:150]
	v_fma_f64 v[135:136], v[67:68], s[0:1], -v[151:152]
	v_add_f64 v[131:132], v[139:140], v[131:132]
	v_add_f64 v[29:30], v[143:144], v[29:30]
	v_fma_f64 v[139:140], v[41:42], s[24:25], -v[145:146]
	v_fma_f64 v[143:144], v[45:46], s[24:25], v[147:148]
	v_mul_f64 v[149:150], v[47:48], s[54:55]
	v_mul_f64 v[151:152], v[43:44], s[54:55]
	v_add_f64 v[31:32], v[133:134], v[31:32]
	v_add_f64 v[125:126], v[135:136], v[125:126]
	v_fma_f64 v[133:134], v[61:62], s[6:7], v[137:138]
	v_fma_f64 v[135:136], v[57:58], s[6:7], -v[141:142]
	v_add_f64 v[131:132], v[139:140], v[131:132]
	;; [unrolled: 10-line block ×5, first 2 shown]
	v_add_f64 v[135:136], v[135:136], v[35:36]
	v_fma_f64 v[149:150], v[70:71], s[6:7], -v[145:146]
	v_fma_f64 v[151:152], v[67:68], s[6:7], v[147:148]
	v_fma_f64 v[141:142], v[89:90], s[38:39], v[141:142]
	v_fma_f64 v[143:144], v[85:86], s[38:39], -v[143:144]
	v_add_f64 v[33:34], v[129:130], v[127:128]
	v_add_f64 v[35:36], v[133:134], v[125:126]
	v_mul_f64 v[125:126], v[72:73], s[40:41]
	v_mul_f64 v[127:128], v[65:66], s[40:41]
	s_mov_b32 s59, 0x3fefdd0d
	s_mov_b32 s58, s28
	v_add_f64 v[129:130], v[149:150], v[131:132]
	v_add_f64 v[131:132], v[151:152], v[135:136]
	;; [unrolled: 1-line block ×4, first 2 shown]
	v_fma_f64 v[133:134], v[81:82], s[4:5], v[137:138]
	v_fma_f64 v[135:136], v[74:75], s[4:5], -v[139:140]
	v_fma_f64 v[137:138], v[61:62], s[42:43], -v[125:126]
	v_fma_f64 v[139:140], v[57:58], s[42:43], v[127:128]
	v_mul_f64 v[141:142], v[63:64], s[58:59]
	v_mul_f64 v[143:144], v[59:60], s[58:59]
	v_fma_f64 v[125:126], v[61:62], s[42:43], v[125:126]
	v_fma_f64 v[127:128], v[57:58], s[42:43], -v[127:128]
	v_add_f64 v[121:122], v[133:134], v[121:122]
	v_add_f64 v[123:124], v[135:136], v[123:124]
	v_fma_f64 v[133:134], v[70:71], s[6:7], v[145:146]
	v_fma_f64 v[135:136], v[67:68], s[6:7], -v[147:148]
	v_add_f64 v[129:130], v[137:138], v[129:130]
	v_add_f64 v[131:132], v[139:140], v[131:132]
	v_fma_f64 v[137:138], v[49:50], s[14:15], -v[141:142]
	v_fma_f64 v[139:140], v[51:52], s[14:15], v[143:144]
	v_mul_f64 v[145:146], v[55:56], s[18:19]
	v_mul_f64 v[147:148], v[53:54], s[18:19]
	v_add_f64 v[121:122], v[133:134], v[121:122]
	v_add_f64 v[123:124], v[135:136], v[123:124]
	v_mul_f64 v[149:150], v[83:84], s[36:37]
	v_mul_f64 v[151:152], v[79:80], s[36:37]
	v_add_f64 v[129:130], v[137:138], v[129:130]
	v_add_f64 v[131:132], v[139:140], v[131:132]
	v_fma_f64 v[133:134], v[41:42], s[0:1], -v[145:146]
	v_fma_f64 v[135:136], v[45:46], s[0:1], v[147:148]
	v_mul_f64 v[137:138], v[47:48], s[34:35]
	v_mul_f64 v[139:140], v[43:44], s[34:35]
	v_add_f64 v[121:122], v[125:126], v[121:122]
	v_add_f64 v[123:124], v[127:128], v[123:124]
	v_fma_f64 v[125:126], v[49:50], s[14:15], v[141:142]
	v_fma_f64 v[127:128], v[51:52], s[14:15], -v[143:144]
	v_add_f64 v[129:130], v[133:134], v[129:130]
	v_add_f64 v[131:132], v[135:136], v[131:132]
	v_fma_f64 v[133:134], v[39:40], s[24:25], -v[137:138]
	v_fma_f64 v[135:136], v[37:38], s[24:25], v[139:140]
	v_mul_f64 v[141:142], v[95:96], s[46:47]
	v_mul_f64 v[143:144], v[93:94], s[46:47]
	v_add_f64 v[125:126], v[125:126], v[121:122]
	v_add_f64 v[127:128], v[127:128], v[123:124]
	v_fma_f64 v[145:146], v[41:42], s[0:1], v[145:146]
	v_fma_f64 v[147:148], v[45:46], s[0:1], -v[147:148]
	v_add_f64 v[121:122], v[133:134], v[129:130]
	v_add_f64 v[123:124], v[135:136], v[131:132]
	v_fma_f64 v[129:130], v[89:90], s[20:21], -v[141:142]
	v_fma_f64 v[131:132], v[85:86], s[20:21], v[143:144]
	v_mul_f64 v[133:134], v[91:92], s[18:19]
	v_mul_f64 v[135:136], v[87:88], s[18:19]
	v_add_f64 v[125:126], v[145:146], v[125:126]
	v_add_f64 v[127:128], v[147:148], v[127:128]
	v_fma_f64 v[137:138], v[39:40], s[24:25], v[137:138]
	v_fma_f64 v[139:140], v[37:38], s[24:25], -v[139:140]
	v_add_f64 v[129:130], v[129:130], v[117:118]
	v_add_f64 v[131:132], v[131:132], v[119:120]
	v_fma_f64 v[145:146], v[81:82], s[0:1], -v[133:134]
	v_fma_f64 v[147:148], v[74:75], s[0:1], v[135:136]
	v_mul_f64 v[153:154], v[91:92], s[28:29]
	v_mul_f64 v[155:156], v[87:88], s[28:29]
	v_add_f64 v[117:118], v[137:138], v[125:126]
	v_add_f64 v[119:120], v[139:140], v[127:128]
	v_fma_f64 v[125:126], v[89:90], s[20:21], v[141:142]
	v_fma_f64 v[127:128], v[85:86], s[20:21], -v[143:144]
	v_add_f64 v[129:130], v[145:146], v[129:130]
	v_add_f64 v[131:132], v[147:148], v[131:132]
	v_fma_f64 v[137:138], v[70:71], s[38:39], -v[149:150]
	v_fma_f64 v[139:140], v[67:68], s[38:39], v[151:152]
	v_mul_f64 v[141:142], v[72:73], s[58:59]
	v_mul_f64 v[143:144], v[65:66], s[58:59]
	v_add_f64 v[113:114], v[125:126], v[113:114]
	v_add_f64 v[115:116], v[127:128], v[115:116]
	v_fma_f64 v[125:126], v[81:82], s[0:1], v[133:134]
	v_fma_f64 v[127:128], v[74:75], s[0:1], -v[135:136]
	v_add_f64 v[129:130], v[137:138], v[129:130]
	v_add_f64 v[131:132], v[139:140], v[131:132]
	v_fma_f64 v[133:134], v[61:62], s[14:15], -v[141:142]
	v_fma_f64 v[135:136], v[57:58], s[14:15], v[143:144]
	v_mul_f64 v[137:138], v[63:64], s[22:23]
	v_mul_f64 v[139:140], v[59:60], s[22:23]
	;; [unrolled: 1-line block ×4, first 2 shown]
	v_add_f64 v[113:114], v[125:126], v[113:114]
	v_add_f64 v[115:116], v[127:128], v[115:116]
	;; [unrolled: 1-line block ×4, first 2 shown]
	v_fma_f64 v[133:134], v[49:50], s[4:5], -v[137:138]
	v_fma_f64 v[135:136], v[51:52], s[4:5], v[139:140]
	v_fma_f64 v[125:126], v[70:71], s[38:39], v[149:150]
	v_fma_f64 v[127:128], v[67:68], s[38:39], -v[151:152]
	v_mul_f64 v[91:92], v[91:92], s[36:37]
	v_mul_f64 v[87:88], v[87:88], s[36:37]
	v_add_f64 v[129:130], v[133:134], v[129:130]
	v_add_f64 v[131:132], v[135:136], v[131:132]
	v_fma_f64 v[133:134], v[41:42], s[42:43], -v[145:146]
	v_fma_f64 v[135:136], v[45:46], s[42:43], v[147:148]
	v_add_f64 v[113:114], v[125:126], v[113:114]
	v_add_f64 v[115:116], v[127:128], v[115:116]
	v_fma_f64 v[125:126], v[61:62], s[14:15], v[141:142]
	v_fma_f64 v[127:128], v[57:58], s[14:15], -v[143:144]
	v_mul_f64 v[141:142], v[47:48], s[48:49]
	v_mul_f64 v[143:144], v[43:44], s[48:49]
	v_add_f64 v[129:130], v[133:134], v[129:130]
	v_add_f64 v[131:132], v[135:136], v[131:132]
	v_mul_f64 v[133:134], v[95:96], s[48:49]
	v_mul_f64 v[135:136], v[93:94], s[48:49]
	v_add_f64 v[113:114], v[125:126], v[113:114]
	v_add_f64 v[115:116], v[127:128], v[115:116]
	v_fma_f64 v[125:126], v[49:50], s[4:5], v[137:138]
	v_fma_f64 v[127:128], v[51:52], s[4:5], -v[139:140]
	v_fma_f64 v[137:138], v[39:40], s[6:7], -v[141:142]
	v_fma_f64 v[139:140], v[37:38], s[6:7], v[143:144]
	v_fma_f64 v[149:150], v[89:90], s[6:7], -v[133:134]
	v_fma_f64 v[151:152], v[85:86], s[6:7], v[135:136]
	v_fma_f64 v[145:146], v[41:42], s[42:43], v[145:146]
	v_fma_f64 v[147:148], v[45:46], s[42:43], -v[147:148]
	v_add_f64 v[125:126], v[125:126], v[113:114]
	v_add_f64 v[127:128], v[127:128], v[115:116]
	;; [unrolled: 1-line block ×6, first 2 shown]
	v_fma_f64 v[129:130], v[81:82], s[14:15], -v[153:154]
	v_fma_f64 v[131:132], v[74:75], s[14:15], v[155:156]
	v_mul_f64 v[137:138], v[83:84], s[56:57]
	v_mul_f64 v[139:140], v[79:80], s[56:57]
	v_fma_f64 v[133:134], v[89:90], s[6:7], v[133:134]
	v_fma_f64 v[135:136], v[85:86], s[6:7], -v[135:136]
	v_add_f64 v[125:126], v[145:146], v[125:126]
	v_add_f64 v[127:128], v[147:148], v[127:128]
	;; [unrolled: 1-line block ×4, first 2 shown]
	v_fma_f64 v[129:130], v[70:71], s[24:25], -v[137:138]
	v_fma_f64 v[131:132], v[67:68], s[24:25], v[139:140]
	v_mul_f64 v[145:146], v[72:73], s[18:19]
	v_mul_f64 v[147:148], v[65:66], s[18:19]
	v_add_f64 v[105:106], v[133:134], v[105:106]
	v_add_f64 v[107:108], v[135:136], v[107:108]
	v_fma_f64 v[133:134], v[81:82], s[14:15], v[153:154]
	v_fma_f64 v[135:136], v[74:75], s[14:15], -v[155:156]
	v_add_f64 v[109:110], v[129:130], v[109:110]
	v_add_f64 v[111:112], v[131:132], v[111:112]
	v_fma_f64 v[129:130], v[61:62], s[0:1], -v[145:146]
	v_fma_f64 v[131:132], v[57:58], s[0:1], v[147:148]
	v_mul_f64 v[149:150], v[63:64], s[40:41]
	v_mul_f64 v[151:152], v[59:60], s[40:41]
	v_add_f64 v[105:106], v[133:134], v[105:106]
	v_add_f64 v[107:108], v[135:136], v[107:108]
	v_fma_f64 v[133:134], v[70:71], s[24:25], v[137:138]
	v_fma_f64 v[135:136], v[67:68], s[24:25], -v[139:140]
	v_fma_f64 v[141:142], v[39:40], s[6:7], v[141:142]
	v_fma_f64 v[143:144], v[37:38], s[6:7], -v[143:144]
	v_add_f64 v[109:110], v[129:130], v[109:110]
	v_add_f64 v[111:112], v[131:132], v[111:112]
	v_fma_f64 v[129:130], v[49:50], s[42:43], -v[149:150]
	v_fma_f64 v[131:132], v[51:52], s[42:43], v[151:152]
	v_mul_f64 v[139:140], v[53:54], s[54:55]
	v_add_f64 v[133:134], v[133:134], v[105:106]
	v_add_f64 v[107:108], v[135:136], v[107:108]
	v_fma_f64 v[135:136], v[61:62], s[0:1], v[145:146]
	v_fma_f64 v[145:146], v[57:58], s[0:1], -v[147:148]
	v_mul_f64 v[95:96], v[95:96], s[50:51]
	v_mul_f64 v[93:94], v[93:94], s[50:51]
	v_add_f64 v[105:106], v[141:142], v[125:126]
	v_add_f64 v[109:110], v[129:130], v[109:110]
	v_add_f64 v[111:112], v[131:132], v[111:112]
	v_fma_f64 v[129:130], v[45:46], s[4:5], v[139:140]
	v_add_f64 v[131:132], v[135:136], v[133:134]
	v_add_f64 v[133:134], v[145:146], v[107:108]
	v_fma_f64 v[141:142], v[89:90], s[0:1], -v[95:96]
	v_add_f64 v[107:108], v[143:144], v[127:128]
	v_fma_f64 v[127:128], v[85:86], s[0:1], v[93:94]
	v_fma_f64 v[89:90], v[89:90], s[0:1], v[95:96]
	v_fma_f64 v[85:86], v[85:86], s[0:1], -v[93:94]
	v_add_f64 v[111:112], v[129:130], v[111:112]
	v_fma_f64 v[129:130], v[81:82], s[38:39], -v[91:92]
	v_mul_f64 v[83:84], v[83:84], s[54:55]
	v_add_f64 v[103:104], v[141:142], v[103:104]
	v_fma_f64 v[93:94], v[74:75], s[38:39], v[87:88]
	v_add_f64 v[99:100], v[127:128], v[99:100]
	v_add_f64 v[89:90], v[89:90], v[101:102]
	v_fma_f64 v[81:82], v[81:82], s[38:39], v[91:92]
	v_mul_f64 v[79:80], v[79:80], s[54:55]
	v_add_f64 v[85:86], v[85:86], v[97:98]
	v_fma_f64 v[74:75], v[74:75], s[38:39], -v[87:88]
	v_add_f64 v[103:104], v[129:130], v[103:104]
	v_fma_f64 v[101:102], v[70:71], s[4:5], -v[83:84]
	v_add_f64 v[87:88], v[93:94], v[99:100]
	v_mul_f64 v[72:73], v[72:73], s[34:35]
	v_add_f64 v[81:82], v[81:82], v[89:90]
	v_fma_f64 v[89:90], v[67:68], s[4:5], v[79:80]
	v_fma_f64 v[70:71], v[70:71], s[4:5], v[83:84]
	v_mul_f64 v[65:66], v[65:66], s[34:35]
	v_add_f64 v[74:75], v[74:75], v[85:86]
	v_fma_f64 v[67:68], v[67:68], s[4:5], -v[79:80]
	v_mul_f64 v[137:138], v[55:56], s[54:55]
	v_add_f64 v[93:94], v[101:102], v[103:104]
	v_mul_f64 v[63:64], v[63:64], s[48:49]
	v_add_f64 v[85:86], v[89:90], v[87:88]
	v_fma_f64 v[87:88], v[61:62], s[24:25], -v[72:73]
	v_add_f64 v[70:71], v[70:71], v[81:82]
	v_fma_f64 v[81:82], v[57:58], s[24:25], v[65:66]
	v_mul_f64 v[59:60], v[59:60], s[48:49]
	v_add_f64 v[67:68], v[67:68], v[74:75]
	v_fma_f64 v[61:62], v[61:62], s[24:25], v[72:73]
	v_fma_f64 v[57:58], v[57:58], s[24:25], -v[65:66]
	v_fma_f64 v[125:126], v[41:42], s[4:5], -v[137:138]
	v_fma_f64 v[135:136], v[49:50], s[42:43], v[149:150]
	v_fma_f64 v[145:146], v[51:52], s[42:43], -v[151:152]
	v_add_f64 v[65:66], v[87:88], v[93:94]
	v_add_f64 v[81:82], v[81:82], v[85:86]
	v_fma_f64 v[85:86], v[49:50], s[6:7], -v[63:64]
	v_fma_f64 v[87:88], v[51:52], s[6:7], v[59:60]
	v_mul_f64 v[55:56], v[55:56], s[30:31]
	v_mul_f64 v[53:54], v[53:54], s[30:31]
	v_add_f64 v[61:62], v[61:62], v[70:71]
	v_add_f64 v[57:58], v[57:58], v[67:68]
	v_fma_f64 v[49:50], v[49:50], s[6:7], v[63:64]
	v_fma_f64 v[51:52], v[51:52], s[6:7], -v[59:60]
	v_add_f64 v[109:110], v[125:126], v[109:110]
	v_add_f64 v[125:126], v[135:136], v[131:132]
	v_fma_f64 v[95:96], v[41:42], s[4:5], v[137:138]
	v_mul_f64 v[83:84], v[47:48], s[30:31]
	v_mul_f64 v[79:80], v[43:44], s[30:31]
	v_add_f64 v[131:132], v[145:146], v[133:134]
	v_fma_f64 v[133:134], v[45:46], s[4:5], -v[139:140]
	v_add_f64 v[59:60], v[85:86], v[65:66]
	v_add_f64 v[63:64], v[87:88], v[81:82]
	v_fma_f64 v[65:66], v[41:42], s[20:21], -v[55:56]
	v_fma_f64 v[67:68], v[45:46], s[20:21], v[53:54]
	v_mul_f64 v[47:48], v[47:48], s[58:59]
	v_mul_f64 v[43:44], v[43:44], s[58:59]
	v_add_f64 v[49:50], v[49:50], v[61:62]
	v_add_f64 v[51:52], v[51:52], v[57:58]
	v_fma_f64 v[41:42], v[41:42], s[20:21], v[55:56]
	v_fma_f64 v[45:46], v[45:46], s[20:21], -v[53:54]
	v_add_f64 v[91:92], v[95:96], v[125:126]
	v_fma_f64 v[53:54], v[39:40], s[20:21], v[83:84]
	v_fma_f64 v[74:75], v[39:40], s[20:21], -v[83:84]
	v_fma_f64 v[72:73], v[37:38], s[20:21], v[79:80]
	v_add_f64 v[95:96], v[133:134], v[131:132]
	v_fma_f64 v[55:56], v[37:38], s[20:21], -v[79:80]
	v_add_f64 v[57:58], v[65:66], v[59:60]
	v_add_f64 v[59:60], v[67:68], v[63:64]
	v_fma_f64 v[61:62], v[39:40], s[14:15], -v[47:48]
	v_fma_f64 v[63:64], v[37:38], s[14:15], v[43:44]
	v_add_f64 v[65:66], v[41:42], v[49:50]
	v_add_f64 v[67:68], v[45:46], v[51:52]
	v_fma_f64 v[50:51], v[39:40], s[14:15], v[47:48]
	v_fma_f64 v[70:71], v[37:38], s[14:15], -v[43:44]
	v_add_f64 v[42:43], v[53:54], v[91:92]
	v_mul_u32_u24_e32 v54, 0x770, v0
	v_lshlrev_b32_e32 v37, 4, v76
	v_add_f64 v[38:39], v[74:75], v[109:110]
	v_add_f64 v[40:41], v[72:73], v[111:112]
	v_add3_u32 v54, 0, v54, v37
	v_add_f64 v[44:45], v[55:56], v[95:96]
	v_add_f64 v[46:47], v[61:62], v[57:58]
	;; [unrolled: 1-line block ×5, first 2 shown]
	ds_write_b128 v54, v[5:8]
	ds_write_b128 v54, v[1:4] offset:112
	ds_write_b128 v54, v[17:20] offset:224
	;; [unrolled: 1-line block ×16, first 2 shown]
	s_waitcnt lgkmcnt(0)
	s_barrier
	s_and_saveexec_b64 s[62:63], vcc
	s_cbranch_execz .LBB0_14
; %bb.13:
	v_mov_b32_e32 v1, v78
	v_mad_u64_u32 v[1:2], s[10:11], s11, v76, v[1:2]
	v_mul_lo_u16_e32 v6, 31, v0
	v_lshrrev_b16_e32 v6, 9, v6
	v_mul_lo_u16_e32 v6, 17, v6
	v_mov_b32_e32 v78, v1
	v_mul_u32_u24_e32 v1, 0x70, v0
	v_sub_u16_e32 v0, v0, v6
	v_and_b32_e32 v8, 0xff, v0
	v_add3_u32 v1, 0, v1, v37
	v_lshlrev_b32_e32 v0, 8, v8
	ds_read_b128 v[2:5], v1 offset:15232
	global_load_dwordx4 v[9:12], v0, s[60:61] offset:112
	global_load_dwordx4 v[13:16], v0, s[60:61] offset:96
	;; [unrolled: 1-line block ×4, first 2 shown]
	ds_read_b128 v[25:28], v1 offset:17136
	global_load_dwordx4 v[29:32], v0, s[60:61] offset:176
	global_load_dwordx4 v[33:36], v0, s[60:61] offset:160
	;; [unrolled: 1-line block ×4, first 2 shown]
	v_mov_b32_e32 v76, 4
	v_mov_b32_e32 v255, 0x1000
	s_waitcnt vmcnt(7) lgkmcnt(1)
	v_mul_f64 v[6:7], v[2:3], v[11:12]
	v_fma_f64 v[45:46], v[4:5], v[9:10], v[6:7]
	s_waitcnt vmcnt(0) lgkmcnt(0)
	v_mul_f64 v[6:7], v[25:26], v[43:44]
	v_mul_f64 v[4:5], v[4:5], v[11:12]
	v_mov_b32_e32 v84, v46
	v_fma_f64 v[6:7], v[27:28], v[41:42], v[6:7]
	v_fma_f64 v[4:5], v[2:3], v[9:10], -v[4:5]
	v_mul_f64 v[2:3], v[27:28], v[43:44]
	v_mov_b32_e32 v83, v45
	v_add_f64 v[195:196], v[45:46], v[6:7]
	v_mov_b32_e32 v82, v7
	v_fma_f64 v[2:3], v[25:26], v[41:42], -v[2:3]
	v_mov_b32_e32 v81, v6
	v_mov_b32_e32 v66, v5
	;; [unrolled: 1-line block ×3, first 2 shown]
	buffer_store_dword v81, off, s[64:67], 0 offset:248 ; 4-byte Folded Spill
	s_nop 0
	buffer_store_dword v82, off, s[64:67], 0 offset:252 ; 4-byte Folded Spill
	buffer_store_dword v83, off, s[64:67], 0 offset:256 ; 4-byte Folded Spill
	s_nop 0
	buffer_store_dword v84, off, s[64:67], 0 offset:260 ; 4-byte Folded Spill
	v_mul_f64 v[6:7], v[195:196], s[42:43]
	v_mul_f64 v[239:240], v[195:196], s[38:39]
	v_mov_b32_e32 v64, v3
	v_mov_b32_e32 v63, v2
	buffer_store_dword v6, off, s[64:67], 0 offset:32 ; 4-byte Folded Spill
	s_nop 0
	buffer_store_dword v7, off, s[64:67], 0 offset:36 ; 4-byte Folded Spill
	buffer_store_dword v65, off, s[64:67], 0 offset:136 ; 4-byte Folded Spill
	s_nop 0
	buffer_store_dword v66, off, s[64:67], 0 offset:140 ; 4-byte Folded Spill
	buffer_store_dword v63, off, s[64:67], 0 offset:128 ; 4-byte Folded Spill
	s_nop 0
	buffer_store_dword v64, off, s[64:67], 0 offset:132 ; 4-byte Folded Spill
	v_add_f64 v[67:68], v[4:5], -v[2:3]
	ds_read_b128 v[2:5], v1 offset:13328
	v_mul_f64 v[149:150], v[195:196], s[4:5]
	v_mul_f64 v[133:134], v[195:196], s[24:25]
	s_waitcnt lgkmcnt(0)
	v_mul_f64 v[9:10], v[2:3], v[15:16]
	v_fma_f64 v[27:28], v[4:5], v[13:14], v[9:10]
	ds_read_b128 v[9:12], v1 offset:19040
	v_mul_f64 v[4:5], v[4:5], v[15:16]
	s_waitcnt lgkmcnt(0)
	v_mul_f64 v[25:26], v[9:10], v[39:40]
	v_mov_b32_e32 v88, v28
	v_mov_b32_e32 v87, v27
	v_fma_f64 v[4:5], v[2:3], v[13:14], -v[4:5]
	v_mul_f64 v[2:3], v[11:12], v[39:40]
	v_fma_f64 v[25:26], v[11:12], v[37:38], v[25:26]
	v_mov_b32_e32 v71, v5
	v_fma_f64 v[2:3], v[9:10], v[37:38], -v[2:3]
	v_mov_b32_e32 v70, v4
	v_add_f64 v[197:198], v[27:28], v[25:26]
	v_mov_b32_e32 v86, v26
	v_mov_b32_e32 v85, v25
	buffer_store_dword v85, off, s[64:67], 0 offset:264 ; 4-byte Folded Spill
	s_nop 0
	buffer_store_dword v86, off, s[64:67], 0 offset:268 ; 4-byte Folded Spill
	buffer_store_dword v87, off, s[64:67], 0 offset:272 ; 4-byte Folded Spill
	s_nop 0
	buffer_store_dword v88, off, s[64:67], 0 offset:276 ; 4-byte Folded Spill
	v_mov_b32_e32 v62, v3
	v_mov_b32_e32 v61, v2
	v_add_f64 v[121:122], v[4:5], -v[2:3]
	v_mul_f64 v[25:26], v[197:198], s[38:39]
	buffer_store_dword v25, off, s[64:67], 0 offset:40 ; 4-byte Folded Spill
	s_nop 0
	buffer_store_dword v26, off, s[64:67], 0 offset:44 ; 4-byte Folded Spill
	buffer_store_dword v70, off, s[64:67], 0 offset:144 ; 4-byte Folded Spill
	s_nop 0
	buffer_store_dword v71, off, s[64:67], 0 offset:148 ; 4-byte Folded Spill
	;; [unrolled: 3-line block ×3, first 2 shown]
	ds_read_b128 v[2:5], v1 offset:11424
	v_mul_f64 v[241:242], v[197:198], s[14:15]
	v_mul_f64 v[147:148], v[197:198], s[24:25]
	;; [unrolled: 1-line block ×3, first 2 shown]
	s_waitcnt lgkmcnt(0)
	v_mul_f64 v[9:10], v[2:3], v[19:20]
	v_fma_f64 v[15:16], v[4:5], v[17:18], v[9:10]
	ds_read_b128 v[9:12], v1 offset:20944
	v_mul_f64 v[4:5], v[4:5], v[19:20]
	s_waitcnt lgkmcnt(0)
	v_mul_f64 v[13:14], v[9:10], v[35:36]
	v_mov_b32_e32 v92, v16
	v_mov_b32_e32 v91, v15
	buffer_store_dword v91, off, s[64:67], 0 offset:296 ; 4-byte Folded Spill
	s_nop 0
	buffer_store_dword v92, off, s[64:67], 0 offset:300 ; 4-byte Folded Spill
	v_fma_f64 v[4:5], v[2:3], v[17:18], -v[4:5]
	v_mul_f64 v[2:3], v[11:12], v[35:36]
	v_fma_f64 v[6:7], v[67:68], s[52:53], v[6:7]
	v_fma_f64 v[13:14], v[11:12], v[33:34], v[13:14]
	v_add_f64 v[165:166], v[65:66], v[63:64]
	v_mov_b32_e32 v73, v5
	v_fma_f64 v[2:3], v[9:10], v[33:34], -v[2:3]
	v_mov_b32_e32 v72, v4
	v_add_f64 v[199:200], v[15:16], v[13:14]
	v_mov_b32_e32 v90, v14
	v_mov_b32_e32 v89, v13
	buffer_store_dword v89, off, s[64:67], 0 offset:280 ; 4-byte Folded Spill
	s_nop 0
	buffer_store_dword v90, off, s[64:67], 0 offset:284 ; 4-byte Folded Spill
	v_mov_b32_e32 v60, v3
	v_mov_b32_e32 v59, v2
	v_mul_f64 v[13:14], v[199:200], s[24:25]
	buffer_store_dword v13, off, s[64:67], 0 offset:48 ; 4-byte Folded Spill
	s_nop 0
	buffer_store_dword v14, off, s[64:67], 0 offset:52 ; 4-byte Folded Spill
	buffer_store_dword v72, off, s[64:67], 0 offset:160 ; 4-byte Folded Spill
	s_nop 0
	buffer_store_dword v73, off, s[64:67], 0 offset:164 ; 4-byte Folded Spill
	buffer_store_dword v59, off, s[64:67], 0 offset:96 ; 4-byte Folded Spill
	s_nop 0
	buffer_store_dword v60, off, s[64:67], 0 offset:100 ; 4-byte Folded Spill
	v_add_f64 v[127:128], v[4:5], -v[2:3]
	ds_read_b128 v[2:5], v1 offset:9520
	v_mul_f64 v[243:244], v[199:200], s[0:1]
	v_mul_f64 v[145:146], v[199:200], s[38:39]
	;; [unrolled: 1-line block ×3, first 2 shown]
	s_waitcnt lgkmcnt(0)
	v_mul_f64 v[9:10], v[2:3], v[23:24]
	v_fma_f64 v[15:16], v[4:5], v[21:22], v[9:10]
	ds_read_b128 v[9:12], v1 offset:22848
	v_mul_f64 v[4:5], v[4:5], v[23:24]
	v_mov_b32_e32 v98, v16
	v_mov_b32_e32 v97, v15
	buffer_store_dword v97, off, s[64:67], 0 offset:320 ; 4-byte Folded Spill
	s_nop 0
	buffer_store_dword v98, off, s[64:67], 0 offset:324 ; 4-byte Folded Spill
	v_fma_f64 v[4:5], v[2:3], v[21:22], -v[4:5]
	s_waitcnt lgkmcnt(0)
	v_mul_f64 v[2:3], v[11:12], v[31:32]
	v_fma_f64 v[45:46], v[121:122], s[44:45], v[25:26]
	v_add_f64 v[169:170], v[70:71], v[61:62]
	v_mov_b32_e32 v75, v5
	v_fma_f64 v[212:213], v[9:10], v[29:30], -v[2:3]
	v_mov_b32_e32 v74, v4
	v_add_f64 v[131:132], v[4:5], -v[212:213]
	v_fma_f64 v[49:50], v[127:128], s[56:57], v[13:14]
	v_mul_f64 v[13:14], v[9:10], v[31:32]
	v_add_f64 v[173:174], v[72:73], v[59:60]
	v_fma_f64 v[13:14], v[11:12], v[29:30], v[13:14]
	v_add_f64 v[201:202], v[15:16], v[13:14]
	v_mov_b32_e32 v96, v14
	v_mov_b32_e32 v95, v13
	buffer_store_dword v95, off, s[64:67], 0 offset:288 ; 4-byte Folded Spill
	s_nop 0
	buffer_store_dword v96, off, s[64:67], 0 offset:292 ; 4-byte Folded Spill
	v_mul_f64 v[13:14], v[201:202], s[20:21]
	buffer_store_dword v13, off, s[64:67], 0 offset:56 ; 4-byte Folded Spill
	s_nop 0
	buffer_store_dword v14, off, s[64:67], 0 offset:60 ; 4-byte Folded Spill
	buffer_store_dword v74, off, s[64:67], 0 offset:184 ; 4-byte Folded Spill
	s_nop 0
	buffer_store_dword v75, off, s[64:67], 0 offset:188 ; 4-byte Folded Spill
	ds_read_b128 v[2:5], v1 offset:7616
	v_mul_f64 v[245:246], v[201:202], s[4:5]
	v_mul_f64 v[143:144], v[201:202], s[6:7]
	;; [unrolled: 1-line block ×3, first 2 shown]
	v_fma_f64 v[51:52], v[131:132], s[46:47], v[13:14]
	global_load_dwordx4 v[9:12], v0, s[60:61] offset:48
	global_load_dwordx4 v[13:16], v0, s[60:61] offset:32
	;; [unrolled: 1-line block ×3, first 2 shown]
	global_load_dwordx4 v[21:24], v0, s[60:61]
	v_add_f64 v[177:178], v[74:75], v[212:213]
	s_waitcnt vmcnt(3) lgkmcnt(0)
	v_mul_f64 v[25:26], v[2:3], v[11:12]
	v_fma_f64 v[53:54], v[4:5], v[9:10], v[25:26]
	ds_read_b128 v[25:28], v1 offset:24752
	global_load_dwordx4 v[29:32], v0, s[60:61] offset:240
	global_load_dwordx4 v[33:36], v0, s[60:61] offset:224
	;; [unrolled: 1-line block ×4, first 2 shown]
	v_mul_f64 v[4:5], v[4:5], v[11:12]
	v_mov_b32_e32 v104, v54
	v_mov_b32_e32 v103, v53
	v_fma_f64 v[4:5], v[2:3], v[9:10], -v[4:5]
	s_waitcnt vmcnt(0) lgkmcnt(0)
	v_mul_f64 v[47:48], v[25:26], v[43:44]
	v_mul_f64 v[2:3], v[27:28], v[43:44]
	v_mov_b32_e32 v44, v5
	v_mov_b32_e32 v43, v4
	v_fma_f64 v[47:48], v[27:28], v[41:42], v[47:48]
	v_fma_f64 v[2:3], v[25:26], v[41:42], -v[2:3]
	v_add_f64 v[57:58], v[53:54], v[47:48]
	v_mov_b32_e32 v102, v48
	v_mov_b32_e32 v101, v47
	buffer_store_dword v101, off, s[64:67], 0 offset:304 ; 4-byte Folded Spill
	s_nop 0
	buffer_store_dword v102, off, s[64:67], 0 offset:308 ; 4-byte Folded Spill
	buffer_store_dword v103, off, s[64:67], 0 offset:336 ; 4-byte Folded Spill
	s_nop 0
	buffer_store_dword v104, off, s[64:67], 0 offset:340 ; 4-byte Folded Spill
	v_mov_b32_e32 v42, v3
	v_mov_b32_e32 v41, v2
	v_add_f64 v[151:152], v[4:5], -v[2:3]
	v_mul_f64 v[47:48], v[57:58], s[14:15]
	buffer_store_dword v47, off, s[64:67], 0 offset:152 ; 4-byte Folded Spill
	s_nop 0
	buffer_store_dword v48, off, s[64:67], 0 offset:156 ; 4-byte Folded Spill
	buffer_store_dword v43, off, s[64:67], 0 offset:200 ; 4-byte Folded Spill
	s_nop 0
	buffer_store_dword v44, off, s[64:67], 0 offset:204 ; 4-byte Folded Spill
	;; [unrolled: 3-line block ×3, first 2 shown]
	ds_read_b128 v[2:5], v1 offset:5712
	v_mul_f64 v[247:248], v[57:58], s[20:21]
	v_mul_f64 v[141:142], v[57:58], s[0:1]
	;; [unrolled: 1-line block ×3, first 2 shown]
	s_waitcnt lgkmcnt(0)
	v_mul_f64 v[9:10], v[2:3], v[15:16]
	v_fma_f64 v[25:26], v[151:152], s[58:59], v[47:48]
	v_fma_f64 v[47:48], v[4:5], v[13:14], v[9:10]
	ds_read_b128 v[9:12], v1 offset:26656
	v_mul_f64 v[4:5], v[4:5], v[15:16]
	v_add_f64 v[181:182], v[43:44], v[41:42]
	v_mul_f64 v[43:44], v[197:198], s[4:5]
	s_waitcnt lgkmcnt(0)
	v_mul_f64 v[27:28], v[9:10], v[39:40]
	v_mov_b32_e32 v108, v48
	v_mov_b32_e32 v107, v47
	v_fma_f64 v[4:5], v[2:3], v[13:14], -v[4:5]
	v_mul_f64 v[2:3], v[11:12], v[39:40]
	buffer_store_dword v107, off, s[64:67], 0 offset:352 ; 4-byte Folded Spill
	s_nop 0
	buffer_store_dword v108, off, s[64:67], 0 offset:356 ; 4-byte Folded Spill
	v_fma_f64 v[27:28], v[11:12], v[37:38], v[27:28]
	v_mov_b32_e32 v80, v5
	v_fma_f64 v[2:3], v[9:10], v[37:38], -v[2:3]
	v_mov_b32_e32 v79, v4
	v_add_f64 v[55:56], v[47:48], v[27:28]
	v_mov_b32_e32 v106, v28
	v_mov_b32_e32 v105, v27
	buffer_store_dword v105, off, s[64:67], 0 offset:312 ; 4-byte Folded Spill
	s_nop 0
	buffer_store_dword v106, off, s[64:67], 0 offset:316 ; 4-byte Folded Spill
	v_mov_b32_e32 v38, v3
	v_mov_b32_e32 v37, v2
	v_add_f64 v[155:156], v[4:5], -v[2:3]
	v_mul_f64 v[27:28], v[55:56], s[6:7]
	buffer_store_dword v27, off, s[64:67], 0 offset:168 ; 4-byte Folded Spill
	s_nop 0
	buffer_store_dword v28, off, s[64:67], 0 offset:172 ; 4-byte Folded Spill
	buffer_store_dword v79, off, s[64:67], 0 offset:208 ; 4-byte Folded Spill
	s_nop 0
	buffer_store_dword v80, off, s[64:67], 0 offset:212 ; 4-byte Folded Spill
	;; [unrolled: 3-line block ×3, first 2 shown]
	ds_read_b128 v[2:5], v1 offset:3808
	v_mul_f64 v[249:250], v[55:56], s[42:43]
	v_mul_f64 v[139:140], v[55:56], s[20:21]
	;; [unrolled: 1-line block ×3, first 2 shown]
	s_waitcnt lgkmcnt(0)
	v_mul_f64 v[9:10], v[2:3], v[19:20]
	v_fma_f64 v[15:16], v[4:5], v[17:18], v[9:10]
	ds_read_b128 v[9:12], v1 offset:28560
	v_mul_f64 v[4:5], v[4:5], v[19:20]
	s_waitcnt lgkmcnt(0)
	v_mul_f64 v[13:14], v[9:10], v[35:36]
	v_mov_b32_e32 v112, v16
	v_mov_b32_e32 v111, v15
	buffer_store_dword v111, off, s[64:67], 0 offset:368 ; 4-byte Folded Spill
	s_nop 0
	buffer_store_dword v112, off, s[64:67], 0 offset:372 ; 4-byte Folded Spill
	v_fma_f64 v[4:5], v[2:3], v[17:18], -v[4:5]
	v_mul_f64 v[2:3], v[11:12], v[35:36]
	v_fma_f64 v[13:14], v[11:12], v[33:34], v[13:14]
	v_mov_b32_e32 v94, v5
	v_fma_f64 v[2:3], v[9:10], v[33:34], -v[2:3]
	v_mov_b32_e32 v93, v4
	v_add_f64 v[53:54], v[15:16], v[13:14]
	v_mov_b32_e32 v110, v14
	v_mov_b32_e32 v109, v13
	buffer_store_dword v109, off, s[64:67], 0 offset:328 ; 4-byte Folded Spill
	s_nop 0
	buffer_store_dword v110, off, s[64:67], 0 offset:332 ; 4-byte Folded Spill
	v_add_f64 v[159:160], v[4:5], -v[2:3]
	v_mov_b32_e32 v40, v3
	v_mul_f64 v[13:14], v[53:54], s[4:5]
	buffer_store_dword v13, off, s[64:67], 0 offset:176 ; 4-byte Folded Spill
	s_nop 0
	buffer_store_dword v14, off, s[64:67], 0 offset:180 ; 4-byte Folded Spill
	v_mov_b32_e32 v39, v2
	buffer_store_dword v93, off, s[64:67], 0 offset:216 ; 4-byte Folded Spill
	s_nop 0
	buffer_store_dword v94, off, s[64:67], 0 offset:220 ; 4-byte Folded Spill
	buffer_store_dword v39, off, s[64:67], 0 offset:64 ; 4-byte Folded Spill
	s_nop 0
	buffer_store_dword v40, off, s[64:67], 0 offset:68 ; 4-byte Folded Spill
	ds_read_b128 v[9:12], v1
	ds_read_b128 v[2:5], v1 offset:1904
	v_mul_f64 v[251:252], v[53:54], s[24:25]
	v_mul_f64 v[137:138], v[53:54], s[42:43]
	;; [unrolled: 1-line block ×3, first 2 shown]
	v_fma_f64 v[27:28], v[155:156], s[48:49], v[27:28]
	v_add_f64 v[185:186], v[79:80], v[37:38]
	v_add_f64 v[219:220], v[111:112], -v[109:110]
	v_mul_f64 v[157:158], v[219:220], s[40:41]
	v_mul_f64 v[61:62], v[219:220], s[46:47]
	v_fma_f64 v[17:18], v[159:160], s[54:55], v[13:14]
	s_waitcnt lgkmcnt(0)
	v_mul_f64 v[13:14], v[2:3], v[23:24]
	v_add_f64 v[189:190], v[93:94], v[39:40]
	v_mul_f64 v[39:40], v[219:220], s[22:23]
	v_mul_f64 v[93:94], v[197:198], s[42:43]
	v_fma_f64 v[19:20], v[4:5], v[21:22], v[13:14]
	ds_read_b128 v[13:16], v1 offset:30464
	s_waitcnt lgkmcnt(0)
	v_mul_f64 v[0:1], v[13:14], v[31:32]
	v_mov_b32_e32 v116, v20
	v_mov_b32_e32 v115, v19
	buffer_store_dword v115, off, s[64:67], 0 offset:384 ; 4-byte Folded Spill
	s_nop 0
	buffer_store_dword v116, off, s[64:67], 0 offset:388 ; 4-byte Folded Spill
	v_fma_f64 v[0:1], v[15:16], v[29:30], v[0:1]
	v_add_f64 v[47:48], v[19:20], v[0:1]
	v_mov_b32_e32 v114, v1
	v_mov_b32_e32 v113, v0
	buffer_store_dword v113, off, s[64:67], 0 offset:344 ; 4-byte Folded Spill
	s_nop 0
	buffer_store_dword v114, off, s[64:67], 0 offset:348 ; 4-byte Folded Spill
	v_mul_f64 v[0:1], v[4:5], v[23:24]
	v_mul_f64 v[19:20], v[47:48], s[0:1]
	buffer_store_dword v19, off, s[64:67], 0 offset:192 ; 4-byte Folded Spill
	s_nop 0
	buffer_store_dword v20, off, s[64:67], 0 offset:196 ; 4-byte Folded Spill
	v_fma_f64 v[2:3], v[2:3], v[21:22], -v[0:1]
	v_mul_f64 v[0:1], v[15:16], v[31:32]
	v_add_f64 v[31:32], v[83:84], -v[81:82]
	v_mul_f64 v[135:136], v[47:48], s[14:15]
	v_mul_f64 v[81:82], v[47:48], s[24:25]
	v_mul_f64 v[83:84], v[53:54], s[20:21]
	v_mul_f64 v[223:224], v[47:48], s[38:39]
	v_mov_b32_e32 v100, v3
	v_fma_f64 v[0:1], v[13:14], v[29:30], -v[0:1]
	v_mov_b32_e32 v99, v2
	buffer_store_dword v99, off, s[64:67], 0 offset:224 ; 4-byte Folded Spill
	s_nop 0
	buffer_store_dword v100, off, s[64:67], 0 offset:228 ; 4-byte Folded Spill
	v_add_f64 v[13:14], v[103:104], -v[101:102]
	v_mul_f64 v[179:180], v[31:32], s[54:55]
	v_mul_f64 v[111:112], v[31:32], s[34:35]
	;; [unrolled: 1-line block ×3, first 2 shown]
	v_add_f64 v[163:164], v[2:3], -v[0:1]
	v_mov_b32_e32 v5, v1
	v_mov_b32_e32 v4, v0
	v_mul_f64 v[2:3], v[31:32], s[40:41]
	buffer_store_dword v4, off, s[64:67], 0 offset:72 ; 4-byte Folded Spill
	s_nop 0
	buffer_store_dword v5, off, s[64:67], 0 offset:76 ; 4-byte Folded Spill
	v_mul_f64 v[167:168], v[13:14], s[50:51]
	v_mul_f64 v[103:104], v[13:14], s[26:27]
	;; [unrolled: 1-line block ×4, first 2 shown]
	v_fma_f64 v[231:232], v[181:182], s[24:25], v[221:222]
	v_fma_f64 v[0:1], v[163:164], s[50:51], v[19:20]
	v_add_f64 v[0:1], v[11:12], v[0:1]
	v_add_f64 v[0:1], v[17:18], v[0:1]
	v_add_f64 v[193:194], v[99:100], v[4:5]
	v_add_f64 v[4:5], v[115:116], -v[113:114]
	v_add_f64 v[0:1], v[27:28], v[0:1]
	v_mul_f64 v[113:114], v[47:48], s[20:21]
	v_mul_f64 v[115:116], v[53:54], s[38:39]
	;; [unrolled: 1-line block ×4, first 2 shown]
	v_add_f64 v[0:1], v[25:26], v[0:1]
	v_add_f64 v[25:26], v[97:98], -v[95:96]
	v_mul_f64 v[153:154], v[4:5], s[28:29]
	v_mul_f64 v[97:98], v[4:5], s[30:31]
	v_mul_f64 v[95:96], v[195:196], s[6:7]
	v_mul_f64 v[59:60], v[4:5], s[34:35]
	v_mul_f64 v[237:238], v[4:5], s[40:41]
	v_add_f64 v[0:1], v[51:52], v[0:1]
	v_add_f64 v[51:52], v[91:92], -v[89:90]
	v_mul_f64 v[171:172], v[25:26], s[26:27]
	v_mul_f64 v[89:90], v[201:202], s[14:15]
	v_mul_f64 v[91:92], v[199:200], s[4:5]
	v_mul_f64 v[70:71], v[25:26], s[58:59]
	v_add_f64 v[0:1], v[49:50], v[0:1]
	v_add_f64 v[49:50], v[87:88], -v[85:86]
	v_mul_f64 v[253:254], v[51:52], s[36:37]
	v_mul_f64 v[85:86], v[55:56], s[0:1]
	;; [unrolled: 1-line block ×4, first 2 shown]
	v_add_f64 v[0:1], v[45:46], v[0:1]
	v_mul_f64 v[175:176], v[49:50], s[56:57]
	v_mul_f64 v[109:110], v[49:50], s[18:19]
	;; [unrolled: 1-line block ×4, first 2 shown]
	v_add_f64 v[15:16], v[6:7], v[0:1]
	v_mul_f64 v[6:7], v[49:50], s[36:37]
	v_add_u32_e32 v0, 0x110, v8
	v_mul_lo_u32 v0, v69, v0
	v_lshlrev_b32_sdwa v1, v76, v0 dst_sel:DWORD dst_unused:UNUSED_PAD src0_sel:DWORD src1_sel:BYTE_0
	v_bfe_u32 v0, v0, 8, 8
	v_lshl_or_b32 v0, v0, 4, v255
	global_load_dwordx4 v[17:20], v1, s[16:17]
	global_load_dwordx4 v[21:24], v0, s[16:17]
	s_nop 0
	buffer_store_dword v2, off, s[64:67], 0 offset:360 ; 4-byte Folded Spill
	s_nop 0
	buffer_store_dword v3, off, s[64:67], 0 offset:364 ; 4-byte Folded Spill
	buffer_store_dword v6, off, s[64:67], 0 offset:376 ; 4-byte Folded Spill
	s_nop 0
	buffer_store_dword v7, off, s[64:67], 0 offset:380 ; 4-byte Folded Spill
	v_fma_f64 v[2:3], v[165:166], s[42:43], v[2:3]
	v_fma_f64 v[27:28], v[169:170], s[38:39], v[6:7]
	v_mul_f64 v[6:7], v[51:52], s[34:35]
	buffer_store_dword v6, off, s[64:67], 0 offset:392 ; 4-byte Folded Spill
	s_nop 0
	buffer_store_dword v7, off, s[64:67], 0 offset:396 ; 4-byte Folded Spill
	s_waitcnt vmcnt(6)
	v_mul_f64 v[0:1], v[19:20], v[23:24]
	v_fma_f64 v[0:1], v[17:18], v[21:22], -v[0:1]
	v_mul_f64 v[17:18], v[17:18], v[23:24]
	v_mul_f64 v[23:24], v[53:54], s[14:15]
	v_fma_f64 v[17:18], v[19:20], v[21:22], v[17:18]
	v_mul_f64 v[21:22], v[55:56], s[24:25]
	v_fma_f64 v[29:30], v[173:174], s[24:25], v[6:7]
	v_mul_f64 v[6:7], v[25:26], s[30:31]
	buffer_store_dword v6, off, s[64:67], 0 offset:416 ; 4-byte Folded Spill
	s_nop 0
	buffer_store_dword v7, off, s[64:67], 0 offset:420 ; 4-byte Folded Spill
	v_fma_f64 v[33:34], v[177:178], s[20:21], v[6:7]
	v_mul_f64 v[6:7], v[13:14], s[28:29]
	buffer_store_dword v6, off, s[64:67], 0 offset:424 ; 4-byte Folded Spill
	s_nop 0
	buffer_store_dword v7, off, s[64:67], 0 offset:428 ; 4-byte Folded Spill
	v_fma_f64 v[35:36], v[181:182], s[14:15], v[6:7]
	v_add_f64 v[6:7], v[107:108], -v[105:106]
	v_mul_f64 v[105:106], v[25:26], s[40:41]
	v_mul_f64 v[107:108], v[51:52], s[58:59]
	;; [unrolled: 1-line block ×3, first 2 shown]
	buffer_store_dword v37, off, s[64:67], 0 offset:432 ; 4-byte Folded Spill
	s_nop 0
	buffer_store_dword v38, off, s[64:67], 0 offset:436 ; 4-byte Folded Spill
	buffer_store_dword v39, off, s[64:67], 0 offset:440 ; 4-byte Folded Spill
	s_nop 0
	buffer_store_dword v40, off, s[64:67], 0 offset:444 ; 4-byte Folded Spill
	;; [unrolled: 3-line block ×3, first 2 shown]
	v_mul_f64 v[161:162], v[6:7], s[46:47]
	v_mul_f64 v[101:102], v[6:7], s[54:55]
	;; [unrolled: 1-line block ×3, first 2 shown]
	v_fma_f64 v[37:38], v[185:186], s[6:7], v[37:38]
	v_fma_f64 v[39:40], v[189:190], s[4:5], v[39:40]
	;; [unrolled: 1-line block ×3, first 2 shown]
	v_add_f64 v[41:42], v[9:10], v[41:42]
	v_add_f64 v[39:40], v[39:40], v[41:42]
	v_mul_f64 v[41:42], v[4:5], s[22:23]
	v_add_f64 v[37:38], v[37:38], v[39:40]
	v_mul_f64 v[39:40], v[219:220], s[28:29]
	;; [unrolled: 2-line block ×7, first 2 shown]
	v_mul_f64 v[19:20], v[2:3], v[17:18]
	v_fma_f64 v[19:20], v[15:16], v[0:1], v[19:20]
	v_mul_f64 v[15:16], v[15:16], v[17:18]
	v_fma_f64 v[17:18], v[2:3], v[0:1], -v[15:16]
	buffer_store_dword v17, off, s[64:67], 0 ; 4-byte Folded Spill
	s_nop 0
	buffer_store_dword v18, off, s[64:67], 0 offset:4 ; 4-byte Folded Spill
	buffer_store_dword v19, off, s[64:67], 0 offset:8 ; 4-byte Folded Spill
	;; [unrolled: 1-line block ×3, first 2 shown]
	v_mul_f64 v[0:1], v[195:196], s[0:1]
	v_mul_f64 v[2:3], v[197:198], s[6:7]
	;; [unrolled: 1-line block ×5, first 2 shown]
	buffer_store_dword v0, off, s[64:67], 0 offset:464 ; 4-byte Folded Spill
	s_nop 0
	buffer_store_dword v1, off, s[64:67], 0 offset:468 ; 4-byte Folded Spill
	buffer_store_dword v2, off, s[64:67], 0 offset:472 ; 4-byte Folded Spill
	s_nop 0
	buffer_store_dword v3, off, s[64:67], 0 offset:476 ; 4-byte Folded Spill
	buffer_store_dword v15, off, s[64:67], 0 offset:480 ; 4-byte Folded Spill
	s_nop 0
	buffer_store_dword v16, off, s[64:67], 0 offset:484 ; 4-byte Folded Spill
	buffer_store_dword v17, off, s[64:67], 0 offset:488 ; 4-byte Folded Spill
	s_nop 0
	buffer_store_dword v18, off, s[64:67], 0 offset:492 ; 4-byte Folded Spill
	buffer_store_dword v19, off, s[64:67], 0 offset:496 ; 4-byte Folded Spill
	s_nop 0
	buffer_store_dword v20, off, s[64:67], 0 offset:500 ; 4-byte Folded Spill
	buffer_store_dword v21, off, s[64:67], 0 offset:504 ; 4-byte Folded Spill
	s_nop 0
	buffer_store_dword v22, off, s[64:67], 0 offset:508 ; 4-byte Folded Spill
	buffer_store_dword v23, off, s[64:67], 0 offset:512 ; 4-byte Folded Spill
	s_nop 0
	buffer_store_dword v24, off, s[64:67], 0 offset:516 ; 4-byte Folded Spill
	buffer_store_dword v27, off, s[64:67], 0 offset:456 ; 4-byte Folded Spill
	s_nop 0
	buffer_store_dword v28, off, s[64:67], 0 offset:460 ; 4-byte Folded Spill
	v_fma_f64 v[0:1], v[67:68], s[18:19], v[0:1]
	v_fma_f64 v[2:3], v[121:122], s[26:27], v[2:3]
	;; [unrolled: 1-line block ×8, first 2 shown]
	v_add_f64 v[27:28], v[11:12], v[27:28]
	v_add_f64 v[23:24], v[23:24], v[27:28]
	v_mul_f64 v[27:28], v[49:50], s[48:49]
	v_add_f64 v[21:22], v[21:22], v[23:24]
	v_mul_f64 v[23:24], v[31:32], s[50:51]
	v_add_f64 v[19:20], v[19:20], v[21:22]
	v_add_f64 v[17:18], v[17:18], v[19:20]
	;; [unrolled: 1-line block ×5, first 2 shown]
	v_add_u32_e32 v2, 0xff, v8
	v_mul_lo_u32 v2, v69, v2
	v_lshlrev_b32_sdwa v3, v76, v2 dst_sel:DWORD dst_unused:UNUSED_PAD src0_sel:DWORD src1_sel:BYTE_0
	v_bfe_u32 v2, v2, 8, 8
	v_lshl_or_b32 v2, v2, 4, v255
	global_load_dwordx4 v[15:18], v3, s[16:17]
	global_load_dwordx4 v[19:22], v2, s[16:17]
	s_nop 0
	buffer_store_dword v23, off, s[64:67], 0 offset:520 ; 4-byte Folded Spill
	s_nop 0
	buffer_store_dword v24, off, s[64:67], 0 offset:524 ; 4-byte Folded Spill
	buffer_store_dword v27, off, s[64:67], 0 offset:528 ; 4-byte Folded Spill
	s_nop 0
	buffer_store_dword v28, off, s[64:67], 0 offset:532 ; 4-byte Folded Spill
	;; [unrolled: 3-line block ×8, first 2 shown]
	v_fma_f64 v[23:24], v[165:166], s[0:1], v[23:24]
	s_waitcnt vmcnt(16)
	v_mul_f64 v[2:3], v[17:18], v[21:22]
	v_fma_f64 v[29:30], v[173:174], s[20:21], v[29:30]
	v_fma_f64 v[33:34], v[177:178], s[38:39], v[33:34]
	;; [unrolled: 1-line block ×7, first 2 shown]
	v_fma_f64 v[2:3], v[15:16], v[19:20], -v[2:3]
	v_mul_f64 v[15:16], v[15:16], v[21:22]
	v_fma_f64 v[21:22], v[155:156], s[40:41], v[249:250]
	v_add_f64 v[41:42], v[9:10], v[41:42]
	v_fma_f64 v[15:16], v[17:18], v[19:20], v[15:16]
	v_fma_f64 v[19:20], v[151:152], s[30:31], v[247:248]
	v_add_f64 v[39:40], v[39:40], v[41:42]
	v_mul_f64 v[41:42], v[4:5], s[26:27]
	v_add_f64 v[37:38], v[37:38], v[39:40]
	v_mul_f64 v[39:40], v[219:220], s[34:35]
	;; [unrolled: 2-line block ×4, first 2 shown]
	v_mul_f64 v[13:14], v[13:14], s[54:55]
	v_add_f64 v[29:30], v[29:30], v[33:34]
	v_mul_f64 v[33:34], v[25:26], s[54:55]
	v_add_f64 v[27:28], v[27:28], v[29:30]
	;; [unrolled: 2-line block ×3, first 2 shown]
	v_mul_f64 v[27:28], v[47:48], s[6:7]
	v_mul_f64 v[47:48], v[47:48], s[42:43]
	;; [unrolled: 1-line block ×3, first 2 shown]
	v_fma_f64 v[17:18], v[0:1], v[2:3], v[17:18]
	v_mul_f64 v[0:1], v[0:1], v[15:16]
	v_fma_f64 v[15:16], v[23:24], v[2:3], -v[0:1]
	buffer_store_dword v15, off, s[64:67], 0 offset:16 ; 4-byte Folded Spill
	s_nop 0
	buffer_store_dword v16, off, s[64:67], 0 offset:20 ; 4-byte Folded Spill
	buffer_store_dword v17, off, s[64:67], 0 offset:24 ; 4-byte Folded Spill
	;; [unrolled: 1-line block ×4, first 2 shown]
	s_nop 0
	buffer_store_dword v28, off, s[64:67], 0 offset:588 ; 4-byte Folded Spill
	v_fma_f64 v[23:24], v[159:160], s[56:57], v[251:252]
	v_fma_f64 v[17:18], v[131:132], s[22:23], v[245:246]
	;; [unrolled: 1-line block ×6, first 2 shown]
	v_add_f64 v[27:28], v[11:12], v[27:28]
	v_add_f64 v[23:24], v[23:24], v[27:28]
	v_mul_f64 v[27:28], v[49:50], s[28:29]
	v_add_f64 v[21:22], v[21:22], v[23:24]
	v_mul_f64 v[23:24], v[31:32], s[36:37]
	v_add_f64 v[19:20], v[19:20], v[21:22]
	v_add_f64 v[17:18], v[17:18], v[19:20]
	v_add_f64 v[15:16], v[15:16], v[17:18]
	v_add_f64 v[2:3], v[2:3], v[15:16]
	v_add_f64 v[0:1], v[0:1], v[2:3]
	v_add_u32_e32 v2, 0xee, v8
	v_mul_lo_u32 v2, v69, v2
	v_lshlrev_b32_sdwa v3, v76, v2 dst_sel:DWORD dst_unused:UNUSED_PAD src0_sel:DWORD src1_sel:BYTE_0
	v_bfe_u32 v2, v2, 8, 8
	v_lshl_or_b32 v2, v2, 4, v255
	global_load_dwordx4 v[15:18], v3, s[16:17]
	global_load_dwordx4 v[19:22], v2, s[16:17]
	s_nop 0
	buffer_store_dword v23, off, s[64:67], 0 offset:600 ; 4-byte Folded Spill
	s_nop 0
	buffer_store_dword v24, off, s[64:67], 0 offset:604 ; 4-byte Folded Spill
	buffer_store_dword v27, off, s[64:67], 0 offset:608 ; 4-byte Folded Spill
	s_nop 0
	buffer_store_dword v28, off, s[64:67], 0 offset:612 ; 4-byte Folded Spill
	buffer_store_dword v29, off, s[64:67], 0 offset:616 ; 4-byte Folded Spill
	s_nop 0
	buffer_store_dword v30, off, s[64:67], 0 offset:620 ; 4-byte Folded Spill
	buffer_store_dword v33, off, s[64:67], 0 offset:624 ; 4-byte Folded Spill
	s_nop 0
	buffer_store_dword v34, off, s[64:67], 0 offset:628 ; 4-byte Folded Spill
	buffer_store_dword v35, off, s[64:67], 0 offset:632 ; 4-byte Folded Spill
	s_nop 0
	buffer_store_dword v36, off, s[64:67], 0 offset:636 ; 4-byte Folded Spill
	buffer_store_dword v37, off, s[64:67], 0 offset:640 ; 4-byte Folded Spill
	s_nop 0
	buffer_store_dword v38, off, s[64:67], 0 offset:644 ; 4-byte Folded Spill
	buffer_store_dword v39, off, s[64:67], 0 offset:648 ; 4-byte Folded Spill
	s_nop 0
	buffer_store_dword v40, off, s[64:67], 0 offset:652 ; 4-byte Folded Spill
	buffer_store_dword v41, off, s[64:67], 0 offset:592 ; 4-byte Folded Spill
	s_nop 0
	buffer_store_dword v42, off, s[64:67], 0 offset:596 ; 4-byte Folded Spill
	v_fma_f64 v[23:24], v[165:166], s[38:39], v[23:24]
	s_waitcnt vmcnt(16)
	v_mul_f64 v[2:3], v[17:18], v[21:22]
	v_fma_f64 v[29:30], v[173:174], s[0:1], v[29:30]
	v_fma_f64 v[33:34], v[177:178], s[4:5], v[33:34]
	;; [unrolled: 1-line block ×7, first 2 shown]
	v_fma_f64 v[2:3], v[15:16], v[19:20], -v[2:3]
	v_mul_f64 v[15:16], v[15:16], v[21:22]
	v_fma_f64 v[21:22], v[155:156], s[30:31], v[139:140]
	v_add_f64 v[41:42], v[9:10], v[41:42]
	v_fma_f64 v[15:16], v[17:18], v[19:20], v[15:16]
	v_fma_f64 v[19:20], v[151:152], s[18:19], v[141:142]
	v_add_f64 v[39:40], v[39:40], v[41:42]
	v_fma_f64 v[41:42], v[193:194], s[14:15], v[153:154]
	v_add_f64 v[37:38], v[37:38], v[39:40]
	;; [unrolled: 2-line block ×3, first 2 shown]
	v_add_f64 v[35:36], v[35:36], v[37:38]
	v_fma_f64 v[37:38], v[185:186], s[20:21], v[161:162]
	v_add_f64 v[39:40], v[39:40], v[41:42]
	v_fma_f64 v[41:42], v[193:194], s[20:21], v[97:98]
	;; [unrolled: 2-line block ×4, first 2 shown]
	v_add_f64 v[41:42], v[9:10], v[41:42]
	v_add_f64 v[29:30], v[29:30], v[33:34]
	v_fma_f64 v[33:34], v[177:178], s[6:7], v[171:172]
	v_add_f64 v[35:36], v[35:36], v[37:38]
	v_fma_f64 v[37:38], v[185:186], s[4:5], v[101:102]
	;; [unrolled: 2-line block ×6, first 2 shown]
	v_add_f64 v[41:42], v[9:10], v[41:42]
	v_add_f64 v[23:24], v[23:24], v[27:28]
	v_fma_f64 v[27:28], v[163:164], s[58:59], v[135:136]
	v_add_f64 v[29:30], v[29:30], v[33:34]
	v_fma_f64 v[33:34], v[177:178], s[42:43], v[105:106]
	;; [unrolled: 2-line block ×3, first 2 shown]
	v_add_f64 v[39:40], v[39:40], v[41:42]
	v_mul_f64 v[41:42], v[199:200], s[42:43]
	v_mul_f64 v[17:18], v[23:24], v[15:16]
	v_add_f64 v[27:28], v[11:12], v[27:28]
	v_add_f64 v[33:34], v[33:34], v[35:36]
	v_fma_f64 v[35:36], v[181:182], s[38:39], v[65:66]
	v_add_f64 v[37:38], v[37:38], v[39:40]
	v_mul_f64 v[39:40], v[6:7], s[28:29]
	v_fma_f64 v[17:18], v[0:1], v[2:3], v[17:18]
	v_mul_f64 v[0:1], v[0:1], v[15:16]
	v_add_f64 v[35:36], v[35:36], v[37:38]
	v_mul_f64 v[37:38], v[201:202], s[0:1]
	v_fma_f64 v[233:234], v[185:186], s[14:15], v[39:40]
	v_fma_f64 v[15:16], v[23:24], v[2:3], -v[0:1]
	v_fma_f64 v[23:24], v[159:160], s[52:53], v[137:138]
	buffer_store_dword v15, off, s[64:67], 0 offset:104 ; 4-byte Folded Spill
	s_nop 0
	buffer_store_dword v16, off, s[64:67], 0 offset:108 ; 4-byte Folded Spill
	buffer_store_dword v17, off, s[64:67], 0 offset:112 ; 4-byte Folded Spill
	;; [unrolled: 1-line block ×3, first 2 shown]
	v_add_f64 v[23:24], v[23:24], v[27:28]
	v_fma_f64 v[17:18], v[131:132], s[48:49], v[143:144]
	v_fma_f64 v[15:16], v[127:128], s[44:45], v[145:146]
	;; [unrolled: 1-line block ×5, first 2 shown]
	v_add_f64 v[21:22], v[21:22], v[23:24]
	v_fma_f64 v[23:24], v[165:166], s[4:5], v[179:180]
	v_add_f64 v[27:28], v[27:28], v[29:30]
	v_fma_f64 v[29:30], v[173:174], s[14:15], v[107:108]
	v_add_f64 v[19:20], v[19:20], v[21:22]
	v_add_f64 v[23:24], v[23:24], v[27:28]
	v_fma_f64 v[27:28], v[163:164], s[46:47], v[113:114]
	v_add_f64 v[29:30], v[29:30], v[33:34]
	;; [unrolled: 3-line block ×3, first 2 shown]
	v_add_f64 v[15:16], v[15:16], v[17:18]
	v_add_f64 v[33:34], v[33:34], v[35:36]
	v_fma_f64 v[35:36], v[163:164], s[44:45], v[223:224]
	v_add_f64 v[2:3], v[2:3], v[15:16]
	v_add_f64 v[35:36], v[11:12], v[35:36]
	;; [unrolled: 1-line block ×3, first 2 shown]
	v_add_u32_e32 v2, 0xdd, v8
	v_mul_lo_u32 v2, v69, v2
	v_lshlrev_b32_sdwa v3, v76, v2 dst_sel:DWORD dst_unused:UNUSED_PAD src0_sel:DWORD src1_sel:BYTE_0
	v_bfe_u32 v2, v2, 8, 8
	v_lshl_or_b32 v2, v2, 4, v255
	global_load_dwordx4 v[15:18], v3, s[16:17]
	global_load_dwordx4 v[19:22], v2, s[16:17]
	s_waitcnt vmcnt(0)
	v_mul_f64 v[2:3], v[17:18], v[21:22]
	v_fma_f64 v[2:3], v[15:16], v[19:20], -v[2:3]
	v_mul_f64 v[15:16], v[15:16], v[21:22]
	v_fma_f64 v[21:22], v[155:156], s[22:23], v[117:118]
	v_fma_f64 v[15:16], v[17:18], v[19:20], v[15:16]
	;; [unrolled: 1-line block ×3, first 2 shown]
	v_mul_f64 v[17:18], v[23:24], v[15:16]
	v_fma_f64 v[17:18], v[0:1], v[2:3], v[17:18]
	v_mul_f64 v[0:1], v[0:1], v[15:16]
	v_fma_f64 v[15:16], v[23:24], v[2:3], -v[0:1]
	v_fma_f64 v[23:24], v[159:160], s[36:37], v[115:116]
	buffer_store_dword v15, off, s[64:67], 0 offset:232 ; 4-byte Folded Spill
	s_nop 0
	buffer_store_dword v16, off, s[64:67], 0 offset:236 ; 4-byte Folded Spill
	buffer_store_dword v17, off, s[64:67], 0 offset:240 ; 4-byte Folded Spill
	;; [unrolled: 1-line block ×3, first 2 shown]
	v_add_f64 v[23:24], v[23:24], v[27:28]
	v_fma_f64 v[17:18], v[131:132], s[52:53], v[123:124]
	v_fma_f64 v[15:16], v[127:128], s[28:29], v[125:126]
	;; [unrolled: 1-line block ×5, first 2 shown]
	v_add_f64 v[21:22], v[21:22], v[23:24]
	v_fma_f64 v[23:24], v[165:166], s[24:25], v[111:112]
	v_add_f64 v[27:28], v[27:28], v[29:30]
	v_fma_f64 v[29:30], v[173:174], s[4:5], v[72:73]
	v_add_f64 v[19:20], v[19:20], v[21:22]
	v_add_f64 v[23:24], v[23:24], v[27:28]
	v_fma_f64 v[27:28], v[163:164], s[56:57], v[81:82]
	v_add_f64 v[29:30], v[29:30], v[33:34]
	v_add_f64 v[17:18], v[17:18], v[19:20]
	v_mul_f64 v[33:34], v[57:58], s[24:25]
	v_mul_f64 v[57:58], v[57:58], s[4:5]
	v_add_f64 v[27:28], v[11:12], v[27:28]
	v_add_f64 v[15:16], v[15:16], v[17:18]
	;; [unrolled: 1-line block ×4, first 2 shown]
	v_add_u32_e32 v2, 0xcc, v8
	v_mul_lo_u32 v2, v69, v2
	v_lshlrev_b32_sdwa v3, v76, v2 dst_sel:DWORD dst_unused:UNUSED_PAD src0_sel:DWORD src1_sel:BYTE_0
	v_bfe_u32 v2, v2, 8, 8
	v_lshl_or_b32 v2, v2, 4, v255
	global_load_dwordx4 v[15:18], v3, s[16:17]
	global_load_dwordx4 v[19:22], v2, s[16:17]
	s_waitcnt vmcnt(0)
	v_mul_f64 v[2:3], v[17:18], v[21:22]
	v_fma_f64 v[2:3], v[15:16], v[19:20], -v[2:3]
	v_mul_f64 v[15:16], v[15:16], v[21:22]
	v_fma_f64 v[21:22], v[155:156], s[50:51], v[85:86]
	v_fma_f64 v[15:16], v[17:18], v[19:20], v[15:16]
	;; [unrolled: 1-line block ×3, first 2 shown]
	v_mul_f64 v[17:18], v[23:24], v[15:16]
	v_fma_f64 v[17:18], v[0:1], v[2:3], v[17:18]
	v_mul_f64 v[0:1], v[0:1], v[15:16]
	v_fma_f64 v[15:16], v[23:24], v[2:3], -v[0:1]
	v_fma_f64 v[23:24], v[159:160], s[30:31], v[83:84]
	buffer_store_dword v15, off, s[64:67], 0 offset:400 ; 4-byte Folded Spill
	s_nop 0
	buffer_store_dword v16, off, s[64:67], 0 offset:404 ; 4-byte Folded Spill
	buffer_store_dword v17, off, s[64:67], 0 offset:408 ; 4-byte Folded Spill
	buffer_store_dword v18, off, s[64:67], 0 offset:412 ; 4-byte Folded Spill
	v_add_f64 v[23:24], v[23:24], v[27:28]
	v_fma_f64 v[17:18], v[131:132], s[28:29], v[89:90]
	v_fma_f64 v[15:16], v[127:128], s[54:55], v[91:92]
	;; [unrolled: 1-line block ×5, first 2 shown]
	v_add_f64 v[21:22], v[21:22], v[23:24]
	v_fma_f64 v[23:24], v[165:166], s[6:7], v[79:80]
	v_add_f64 v[27:28], v[27:28], v[29:30]
	v_mul_f64 v[29:30], v[55:56], s[14:15]
	v_add_f64 v[19:20], v[19:20], v[21:22]
	v_add_f64 v[23:24], v[23:24], v[27:28]
	v_mul_f64 v[27:28], v[53:54], s[6:7]
	v_fma_f64 v[53:54], v[159:160], s[18:19], v[205:206]
	v_add_f64 v[17:18], v[17:18], v[19:20]
	v_add_f64 v[15:16], v[15:16], v[17:18]
	;; [unrolled: 1-line block ×4, first 2 shown]
	v_add_u32_e32 v2, 0xbb, v8
	v_mul_lo_u32 v2, v69, v2
	v_lshlrev_b32_sdwa v3, v76, v2 dst_sel:DWORD dst_unused:UNUSED_PAD src0_sel:DWORD src1_sel:BYTE_0
	v_bfe_u32 v2, v2, 8, 8
	v_lshl_or_b32 v2, v2, 4, v255
	global_load_dwordx4 v[15:18], v3, s[16:17]
	global_load_dwordx4 v[19:22], v2, s[16:17]
	s_waitcnt vmcnt(0)
	v_mul_f64 v[2:3], v[17:18], v[21:22]
	v_fma_f64 v[2:3], v[15:16], v[19:20], -v[2:3]
	v_mul_f64 v[15:16], v[15:16], v[21:22]
	v_fma_f64 v[21:22], v[155:156], s[58:59], v[29:30]
	v_fma_f64 v[15:16], v[17:18], v[19:20], v[15:16]
	;; [unrolled: 1-line block ×3, first 2 shown]
	v_mul_f64 v[17:18], v[23:24], v[15:16]
	v_fma_f64 v[217:218], v[0:1], v[2:3], v[17:18]
	v_mul_f64 v[0:1], v[0:1], v[15:16]
	v_fma_f64 v[17:18], v[131:132], s[50:51], v[37:38]
	v_fma_f64 v[15:16], v[127:128], s[52:53], v[41:42]
	v_fma_f64 v[215:216], v[23:24], v[2:3], -v[0:1]
	v_fma_f64 v[23:24], v[159:160], s[26:27], v[27:28]
	v_fma_f64 v[2:3], v[121:122], s[22:23], v[43:44]
	;; [unrolled: 1-line block ×4, first 2 shown]
	v_add_f64 v[23:24], v[23:24], v[35:36]
	v_mul_f64 v[35:36], v[51:52], s[40:41]
	v_mul_f64 v[51:52], v[51:52], s[48:49]
	v_add_f64 v[21:22], v[21:22], v[23:24]
	v_fma_f64 v[227:228], v[173:174], s[42:43], v[35:36]
	v_mul_f64 v[23:24], v[31:32], s[30:31]
	v_mul_f64 v[31:32], v[31:32], s[58:59]
	v_add_f64 v[19:20], v[19:20], v[21:22]
	v_mul_f64 v[21:22], v[49:50], s[54:55]
	v_fma_f64 v[183:184], v[165:166], s[20:21], v[23:24]
	v_mul_f64 v[49:50], v[49:50], s[30:31]
	v_fma_f64 v[23:24], v[165:166], s[20:21], -v[23:24]
	v_add_f64 v[17:18], v[17:18], v[19:20]
	v_mul_f64 v[19:20], v[25:26], s[18:19]
	v_fma_f64 v[225:226], v[169:170], s[4:5], v[21:22]
	v_mul_f64 v[25:26], v[25:26], s[34:35]
	v_fma_f64 v[21:22], v[169:170], s[4:5], -v[21:22]
	;; [unrolled: 5-line block ×3, first 2 shown]
	v_add_f64 v[2:3], v[2:3], v[15:16]
	v_fma_f64 v[235:236], v[189:190], s[6:7], v[17:18]
	v_fma_f64 v[17:18], v[189:190], s[6:7], -v[17:18]
	v_add_f64 v[191:192], v[0:1], v[2:3]
	v_add_u32_e32 v0, 0xaa, v8
	v_mul_lo_u32 v0, v69, v0
	v_lshlrev_b32_sdwa v1, v76, v0 dst_sel:DWORD dst_unused:UNUSED_PAD src0_sel:DWORD src1_sel:BYTE_0
	v_bfe_u32 v0, v0, 8, 8
	v_lshl_or_b32 v0, v0, 4, v255
	global_load_dwordx4 v[207:210], v1, s[16:17]
	s_nop 0
	global_load_dwordx4 v[0:3], v0, s[16:17]
	s_waitcnt vmcnt(0)
	v_mul_f64 v[15:16], v[209:210], v[2:3]
	v_mul_f64 v[2:3], v[207:208], v[2:3]
	v_fma_f64 v[187:188], v[207:208], v[0:1], -v[15:16]
	v_mul_f64 v[15:16], v[4:5], s[36:37]
	v_fma_f64 v[0:1], v[209:210], v[0:1], v[2:3]
	v_fma_f64 v[4:5], v[193:194], s[42:43], v[237:238]
	;; [unrolled: 1-line block ×3, first 2 shown]
	v_fma_f64 v[15:16], v[193:194], s[38:39], -v[15:16]
	v_add_f64 v[4:5], v[9:10], v[4:5]
	v_add_f64 v[203:204], v[9:10], v[203:204]
	;; [unrolled: 1-line block ×4, first 2 shown]
	v_fma_f64 v[235:236], v[189:190], s[0:1], v[219:220]
	v_add_f64 v[15:16], v[17:18], v[15:16]
	v_fma_f64 v[17:18], v[159:160], s[46:47], v[83:84]
	v_add_f64 v[203:204], v[233:234], v[203:204]
	v_mul_f64 v[233:234], v[6:7], s[36:37]
	v_add_f64 v[4:5], v[235:236], v[4:5]
	v_add_f64 v[203:204], v[231:232], v[203:204]
	v_fma_f64 v[6:7], v[185:186], s[38:39], v[233:234]
	v_fma_f64 v[231:232], v[181:182], s[4:5], v[13:14]
	v_fma_f64 v[13:14], v[181:182], s[4:5], -v[13:14]
	v_add_f64 v[203:204], v[229:230], v[203:204]
	v_add_f64 v[4:5], v[6:7], v[4:5]
	v_fma_f64 v[229:230], v[177:178], s[24:25], v[25:26]
	v_fma_f64 v[25:26], v[177:178], s[24:25], -v[25:26]
	v_add_f64 v[203:204], v[227:228], v[203:204]
	v_add_f64 v[4:5], v[231:232], v[4:5]
	v_fma_f64 v[227:228], v[173:174], s[6:7], v[51:52]
	v_fma_f64 v[51:52], v[173:174], s[6:7], -v[51:52]
	v_add_f64 v[203:204], v[225:226], v[203:204]
	v_fma_f64 v[225:226], v[163:164], s[52:53], v[47:48]
	v_add_f64 v[4:5], v[229:230], v[4:5]
	v_fma_f64 v[47:48], v[163:164], s[40:41], v[47:48]
	v_add_f64 v[183:184], v[183:184], v[203:204]
	v_mul_f64 v[203:204], v[55:56], s[38:39]
	v_add_f64 v[225:226], v[11:12], v[225:226]
	v_add_f64 v[4:5], v[227:228], v[4:5]
	;; [unrolled: 1-line block ×3, first 2 shown]
	v_mul_f64 v[2:3], v[183:184], v[0:1]
	v_mul_f64 v[0:1], v[191:192], v[0:1]
	v_fma_f64 v[55:56], v[155:156], s[44:45], v[203:204]
	v_add_f64 v[53:54], v[53:54], v[225:226]
	v_fma_f64 v[225:226], v[169:170], s[20:21], v[49:50]
	v_fma_f64 v[49:50], v[169:170], s[20:21], -v[49:50]
	v_fma_f64 v[209:210], v[191:192], v[187:188], v[2:3]
	v_fma_f64 v[207:208], v[183:184], v[187:188], -v[0:1]
	v_mul_f64 v[187:188], v[197:198], s[20:21]
	v_mul_f64 v[197:198], v[201:202], s[24:25]
	v_fma_f64 v[201:202], v[151:152], s[22:23], v[57:58]
	v_add_f64 v[53:54], v[55:56], v[53:54]
	v_mul_f64 v[191:192], v[199:200], s[6:7]
	v_mul_f64 v[183:184], v[195:196], s[14:15]
	v_add_f64 v[4:5], v[225:226], v[4:5]
	v_fma_f64 v[2:3], v[121:122], s[46:47], v[187:188]
	v_fma_f64 v[199:200], v[131:132], s[56:57], v[197:198]
	;; [unrolled: 1-line block ×3, first 2 shown]
	v_add_f64 v[53:54], v[201:202], v[53:54]
	v_fma_f64 v[195:196], v[127:128], s[26:27], v[191:192]
	v_fma_f64 v[0:1], v[67:68], s[28:29], v[183:184]
	;; [unrolled: 1-line block ×3, first 2 shown]
	v_fma_f64 v[31:32], v[165:166], s[14:15], -v[31:32]
	v_add_f64 v[53:54], v[199:200], v[53:54]
	v_add_f64 v[4:5], v[201:202], v[4:5]
	;; [unrolled: 1-line block ×5, first 2 shown]
	v_add_u32_e32 v0, 0x99, v8
	v_mul_lo_u32 v53, v69, v0
	v_lshlrev_b32_sdwa v0, v76, v53 dst_sel:DWORD dst_unused:UNUSED_PAD src0_sel:DWORD src1_sel:BYTE_0
	v_bfe_u32 v53, v53, 8, 8
	v_lshl_or_b32 v53, v53, 4, v255
	global_load_dwordx4 v[0:3], v0, s[16:17]
	s_nop 0
	global_load_dwordx4 v[53:56], v53, s[16:17]
	s_waitcnt vmcnt(0)
	v_mul_f64 v[199:200], v[2:3], v[55:56]
	v_fma_f64 v[199:200], v[0:1], v[53:54], -v[199:200]
	v_mul_f64 v[0:1], v[0:1], v[55:56]
	v_fma_f64 v[55:56], v[155:156], s[36:37], v[203:204]
	v_fma_f64 v[0:1], v[2:3], v[53:54], v[0:1]
	;; [unrolled: 1-line block ×4, first 2 shown]
	v_mul_f64 v[2:3], v[4:5], v[0:1]
	v_mul_f64 v[0:1], v[195:196], v[0:1]
	v_add_f64 v[47:48], v[57:58], v[47:48]
	v_fma_f64 v[57:58], v[189:190], s[0:1], -v[219:220]
	v_fma_f64 v[201:202], v[195:196], v[199:200], v[2:3]
	v_fma_f64 v[199:200], v[4:5], v[199:200], -v[0:1]
	v_add_f64 v[47:48], v[55:56], v[47:48]
	v_fma_f64 v[4:5], v[127:128], s[48:49], v[191:192]
	v_fma_f64 v[2:3], v[121:122], s[30:31], v[187:188]
	;; [unrolled: 1-line block ×3, first 2 shown]
	v_fma_f64 v[183:184], v[193:194], s[42:43], -v[237:238]
	v_fma_f64 v[55:56], v[185:186], s[38:39], -v[233:234]
	v_add_f64 v[47:48], v[53:54], v[47:48]
	v_add_f64 v[183:184], v[9:10], v[183:184]
	;; [unrolled: 1-line block ×9, first 2 shown]
	v_add_u32_e32 v0, 0x88, v8
	v_mul_lo_u32 v4, v69, v0
	v_add_f64 v[13:14], v[25:26], v[13:14]
	v_fma_f64 v[25:26], v[155:156], s[28:29], v[29:30]
	v_lshlrev_b32_sdwa v0, v76, v4 dst_sel:DWORD dst_unused:UNUSED_PAD src0_sel:DWORD src1_sel:BYTE_0
	v_bfe_u32 v4, v4, 8, 8
	v_lshl_or_b32 v4, v4, 4, v255
	global_load_dwordx4 v[0:3], v0, s[16:17]
	v_fma_f64 v[29:30], v[163:164], s[36:37], v[223:224]
	global_load_dwordx4 v[4:7], v4, s[16:17]
	v_add_f64 v[13:14], v[51:52], v[13:14]
	v_add_f64 v[29:30], v[11:12], v[29:30]
	v_add_f64 v[13:14], v[49:50], v[13:14]
	v_add_f64 v[27:28], v[27:28], v[29:30]
	v_fma_f64 v[29:30], v[181:182], s[24:25], -v[221:222]
	v_add_f64 v[13:14], v[31:32], v[13:14]
	v_fma_f64 v[31:32], v[185:186], s[14:15], -v[39:40]
	v_add_f64 v[25:26], v[25:26], v[27:28]
	;; [unrolled: 2-line block ×5, first 2 shown]
	v_add_f64 v[15:16], v[19:20], v[15:16]
	v_fma_f64 v[19:20], v[163:164], s[34:35], v[81:82]
	v_add_f64 v[29:30], v[29:30], v[31:32]
	v_fma_f64 v[31:32], v[193:194], s[20:21], -v[97:98]
	v_add_f64 v[15:16], v[27:28], v[15:16]
	v_add_f64 v[19:20], v[11:12], v[19:20]
	v_fma_f64 v[27:28], v[185:186], s[0:1], -v[63:64]
	v_add_f64 v[31:32], v[9:10], v[31:32]
	v_add_f64 v[15:16], v[21:22], v[15:16]
	;; [unrolled: 1-line block ×4, first 2 shown]
	v_fma_f64 v[21:22], v[173:174], s[4:5], -v[72:73]
	v_fma_f64 v[19:20], v[169:170], s[42:43], -v[74:75]
	;; [unrolled: 1-line block ×3, first 2 shown]
	v_add_f64 v[15:16], v[23:24], v[15:16]
	v_fma_f64 v[23:24], v[177:178], s[14:15], -v[70:71]
	v_add_f64 v[29:30], v[29:30], v[31:32]
	v_fma_f64 v[31:32], v[193:194], s[14:15], -v[153:154]
	s_waitcnt vmcnt(0)
	v_mul_f64 v[53:54], v[2:3], v[6:7]
	v_add_f64 v[31:32], v[9:10], v[31:32]
	v_fma_f64 v[53:54], v[0:1], v[4:5], -v[53:54]
	v_mul_f64 v[0:1], v[0:1], v[6:7]
	v_fma_f64 v[6:7], v[131:132], s[18:19], v[37:38]
	v_fma_f64 v[0:1], v[2:3], v[4:5], v[0:1]
	;; [unrolled: 1-line block ×3, first 2 shown]
	v_mul_f64 v[2:3], v[13:14], v[0:1]
	v_mul_f64 v[0:1], v[47:48], v[0:1]
	v_fma_f64 v[197:198], v[47:48], v[53:54], v[2:3]
	v_fma_f64 v[195:196], v[13:14], v[53:54], -v[0:1]
	v_fma_f64 v[13:14], v[151:152], s[56:57], v[33:34]
	v_fma_f64 v[2:3], v[121:122], s[54:55], v[43:44]
	;; [unrolled: 1-line block ×3, first 2 shown]
	v_add_f64 v[13:14], v[13:14], v[25:26]
	v_add_f64 v[6:7], v[6:7], v[13:14]
	;; [unrolled: 1-line block ×5, first 2 shown]
	v_add_u32_e32 v0, 0x77, v8
	v_mul_lo_u32 v4, v69, v0
	v_lshlrev_b32_sdwa v0, v76, v4 dst_sel:DWORD dst_unused:UNUSED_PAD src0_sel:DWORD src1_sel:BYTE_0
	v_bfe_u32 v4, v4, 8, 8
	v_lshl_or_b32 v4, v4, 4, v255
	global_load_dwordx4 v[0:3], v0, s[16:17]
	s_nop 0
	global_load_dwordx4 v[4:7], v4, s[16:17]
	s_waitcnt vmcnt(0)
	v_mul_f64 v[25:26], v[2:3], v[6:7]
	v_fma_f64 v[25:26], v[0:1], v[4:5], -v[25:26]
	v_mul_f64 v[0:1], v[0:1], v[6:7]
	v_fma_f64 v[6:7], v[131:132], s[58:59], v[89:90]
	v_fma_f64 v[0:1], v[2:3], v[4:5], v[0:1]
	;; [unrolled: 1-line block ×3, first 2 shown]
	v_mul_f64 v[2:3], v[15:16], v[0:1]
	v_mul_f64 v[0:1], v[13:14], v[0:1]
	v_fma_f64 v[43:44], v[13:14], v[25:26], v[2:3]
	v_fma_f64 v[41:42], v[15:16], v[25:26], -v[0:1]
	v_fma_f64 v[15:16], v[155:156], s[18:19], v[85:86]
	v_fma_f64 v[13:14], v[151:152], s[36:37], v[87:88]
	;; [unrolled: 1-line block ×4, first 2 shown]
	v_fma_f64 v[25:26], v[181:182], s[38:39], -v[65:66]
	v_add_f64 v[15:16], v[15:16], v[17:18]
	v_fma_f64 v[17:18], v[165:166], s[6:7], -v[79:80]
	v_add_f64 v[25:26], v[25:26], v[27:28]
	;; [unrolled: 2-line block ×3, first 2 shown]
	v_add_f64 v[23:24], v[23:24], v[25:26]
	v_fma_f64 v[25:26], v[181:182], s[6:7], -v[103:104]
	v_add_f64 v[27:28], v[27:28], v[29:30]
	v_fma_f64 v[29:30], v[189:190], s[42:43], -v[157:158]
	v_add_f64 v[6:7], v[6:7], v[13:14]
	v_add_f64 v[21:22], v[21:22], v[23:24]
	v_fma_f64 v[23:24], v[177:178], s[42:43], -v[105:106]
	v_add_f64 v[25:26], v[25:26], v[27:28]
	v_fma_f64 v[27:28], v[185:186], s[20:21], -v[161:162]
	v_add_f64 v[4:5], v[4:5], v[6:7]
	v_add_f64 v[29:30], v[29:30], v[31:32]
	;; [unrolled: 1-line block ×3, first 2 shown]
	v_fma_f64 v[21:22], v[173:174], s[14:15], -v[107:108]
	v_add_f64 v[23:24], v[23:24], v[25:26]
	v_fma_f64 v[25:26], v[181:182], s[0:1], -v[167:168]
	v_add_f64 v[2:3], v[2:3], v[4:5]
	v_add_f64 v[27:28], v[27:28], v[29:30]
	;; [unrolled: 1-line block ×3, first 2 shown]
	v_fma_f64 v[19:20], v[163:164], s[30:31], v[113:114]
	v_add_f64 v[21:22], v[21:22], v[23:24]
	v_fma_f64 v[23:24], v[177:178], s[6:7], -v[171:172]
	v_add_f64 v[13:14], v[0:1], v[2:3]
	v_add_u32_e32 v0, 0x66, v8
	v_mul_lo_u32 v4, v69, v0
	v_add_f64 v[25:26], v[25:26], v[27:28]
	v_add_f64 v[19:20], v[11:12], v[19:20]
	v_lshlrev_b32_sdwa v0, v76, v4 dst_sel:DWORD dst_unused:UNUSED_PAD src0_sel:DWORD src1_sel:BYTE_0
	v_bfe_u32 v4, v4, 8, 8
	v_lshl_or_b32 v4, v4, 4, v255
	global_load_dwordx4 v[0:3], v0, s[16:17]
	v_add_f64 v[23:24], v[23:24], v[25:26]
	global_load_dwordx4 v[4:7], v4, s[16:17]
	s_waitcnt vmcnt(0)
	v_mul_f64 v[15:16], v[2:3], v[6:7]
	v_fma_f64 v[15:16], v[0:1], v[4:5], -v[15:16]
	v_mul_f64 v[0:1], v[0:1], v[6:7]
	v_fma_f64 v[6:7], v[131:132], s[40:41], v[123:124]
	v_fma_f64 v[0:1], v[2:3], v[4:5], v[0:1]
	;; [unrolled: 1-line block ×3, first 2 shown]
	v_mul_f64 v[2:3], v[17:18], v[0:1]
	v_mul_f64 v[0:1], v[13:14], v[0:1]
	v_fma_f64 v[47:48], v[13:14], v[15:16], v[2:3]
	v_fma_f64 v[45:46], v[17:18], v[15:16], -v[0:1]
	v_fma_f64 v[17:18], v[159:160], s[44:45], v[115:116]
	v_fma_f64 v[15:16], v[155:156], s[54:55], v[117:118]
	;; [unrolled: 1-line block ×5, first 2 shown]
	v_add_f64 v[17:18], v[17:18], v[19:20]
	v_fma_f64 v[19:20], v[169:170], s[0:1], -v[109:110]
	v_add_f64 v[15:16], v[15:16], v[17:18]
	v_fma_f64 v[17:18], v[165:166], s[24:25], -v[111:112]
	;; [unrolled: 2-line block ×3, first 2 shown]
	v_add_f64 v[13:14], v[13:14], v[15:16]
	v_add_f64 v[17:18], v[17:18], v[19:20]
	v_fma_f64 v[19:20], v[163:164], s[28:29], v[135:136]
	v_add_f64 v[21:22], v[21:22], v[23:24]
	v_add_f64 v[6:7], v[6:7], v[13:14]
	;; [unrolled: 1-line block ×6, first 2 shown]
	v_add_u32_e32 v0, 0x55, v8
	v_mul_lo_u32 v4, v69, v0
	v_lshlrev_b32_sdwa v0, v76, v4 dst_sel:DWORD dst_unused:UNUSED_PAD src0_sel:DWORD src1_sel:BYTE_0
	v_bfe_u32 v4, v4, 8, 8
	v_lshl_or_b32 v4, v4, 4, v255
	global_load_dwordx4 v[0:3], v0, s[16:17]
	s_nop 0
	global_load_dwordx4 v[4:7], v4, s[16:17]
	s_waitcnt vmcnt(0)
	v_mul_f64 v[15:16], v[2:3], v[6:7]
	v_fma_f64 v[15:16], v[0:1], v[4:5], -v[15:16]
	v_mul_f64 v[0:1], v[0:1], v[6:7]
	v_fma_f64 v[6:7], v[131:132], s[26:27], v[143:144]
	v_fma_f64 v[0:1], v[2:3], v[4:5], v[0:1]
	;; [unrolled: 1-line block ×3, first 2 shown]
	v_mul_f64 v[2:3], v[17:18], v[0:1]
	v_mul_f64 v[0:1], v[13:14], v[0:1]
	v_fma_f64 v[51:52], v[13:14], v[15:16], v[2:3]
	v_fma_f64 v[49:50], v[17:18], v[15:16], -v[0:1]
	v_fma_f64 v[17:18], v[159:160], s[40:41], v[137:138]
	v_fma_f64 v[15:16], v[155:156], s[46:47], v[139:140]
	v_fma_f64 v[13:14], v[151:152], s[50:51], v[141:142]
	v_fma_f64 v[2:3], v[121:122], s[56:57], v[147:148]
	v_fma_f64 v[0:1], v[67:68], s[54:55], v[149:150]
	v_add_f64 v[17:18], v[17:18], v[19:20]
	v_fma_f64 v[19:20], v[169:170], s[24:25], -v[175:176]
	v_add_f64 v[15:16], v[15:16], v[17:18]
	v_fma_f64 v[17:18], v[165:166], s[4:5], -v[179:180]
	v_add_f64 v[19:20], v[19:20], v[21:22]
	v_add_f64 v[13:14], v[13:14], v[15:16]
	;; [unrolled: 1-line block ×7, first 2 shown]
	v_add_u32_e32 v2, 0x44, v8
	v_mul_lo_u32 v6, v69, v2
	v_lshlrev_b32_sdwa v2, v76, v6 dst_sel:DWORD dst_unused:UNUSED_PAD src0_sel:DWORD src1_sel:BYTE_0
	v_bfe_u32 v6, v6, 8, 8
	v_lshl_or_b32 v6, v6, 4, v255
	global_load_dwordx4 v[2:5], v2, s[16:17]
	s_nop 0
	global_load_dwordx4 v[13:16], v6, s[16:17]
	buffer_load_dword v19, off, s[64:67], 0 offset:584 ; 4-byte Folded Reload
	buffer_load_dword v20, off, s[64:67], 0 offset:588 ; 4-byte Folded Reload
	s_waitcnt vmcnt(2)
	v_mul_f64 v[6:7], v[4:5], v[15:16]
	s_waitcnt vmcnt(0)
	v_fma_f64 v[19:20], v[163:164], s[26:27], v[19:20]
	v_fma_f64 v[6:7], v[2:3], v[13:14], -v[6:7]
	v_mul_f64 v[2:3], v[2:3], v[15:16]
	v_add_f64 v[19:20], v[11:12], v[19:20]
	v_fma_f64 v[15:16], v[155:156], s[52:53], v[249:250]
	v_fma_f64 v[2:3], v[4:5], v[13:14], v[2:3]
	;; [unrolled: 1-line block ×3, first 2 shown]
	v_mul_f64 v[4:5], v[17:18], v[2:3]
	v_fma_f64 v[55:56], v[0:1], v[6:7], v[4:5]
	v_mul_f64 v[0:1], v[0:1], v[2:3]
	v_fma_f64 v[4:5], v[127:128], s[18:19], v[243:244]
	v_fma_f64 v[2:3], v[121:122], s[28:29], v[241:242]
	v_fma_f64 v[53:54], v[17:18], v[6:7], -v[0:1]
	v_fma_f64 v[17:18], v[159:160], s[34:35], v[251:252]
	v_fma_f64 v[6:7], v[131:132], s[54:55], v[245:246]
	;; [unrolled: 1-line block ×3, first 2 shown]
	v_add_f64 v[17:18], v[17:18], v[19:20]
	v_add_f64 v[15:16], v[15:16], v[17:18]
	;; [unrolled: 1-line block ×7, first 2 shown]
	v_add_u32_e32 v0, 51, v8
	v_mul_lo_u32 v4, v69, v0
	v_lshlrev_b32_sdwa v0, v76, v4 dst_sel:DWORD dst_unused:UNUSED_PAD src0_sel:DWORD src1_sel:BYTE_0
	v_bfe_u32 v4, v4, 8, 8
	v_lshl_or_b32 v4, v4, 4, v255
	global_load_dwordx4 v[0:3], v0, s[16:17]
	s_nop 0
	global_load_dwordx4 v[4:7], v4, s[16:17]
	s_nop 0
	buffer_load_dword v17, off, s[64:67], 0 offset:600 ; 4-byte Folded Reload
	buffer_load_dword v18, off, s[64:67], 0 offset:604 ; 4-byte Folded Reload
	;; [unrolled: 1-line block ×16, first 2 shown]
	s_waitcnt vmcnt(16)
	v_mul_f64 v[15:16], v[2:3], v[6:7]
	s_waitcnt vmcnt(14)
	v_fma_f64 v[17:18], v[165:166], s[38:39], -v[17:18]
	s_waitcnt vmcnt(12)
	v_fma_f64 v[19:20], v[169:170], s[14:15], -v[19:20]
	;; [unrolled: 2-line block ×8, first 2 shown]
	v_fma_f64 v[15:16], v[0:1], v[4:5], -v[15:16]
	v_mul_f64 v[0:1], v[0:1], v[6:7]
	v_add_f64 v[31:32], v[9:10], v[31:32]
	v_fma_f64 v[0:1], v[2:3], v[4:5], v[0:1]
	v_add_f64 v[29:30], v[29:30], v[31:32]
	v_add_f64 v[27:28], v[27:28], v[29:30]
	;; [unrolled: 1-line block ×7, first 2 shown]
	v_mul_f64 v[2:3], v[17:18], v[0:1]
	v_mul_f64 v[0:1], v[13:14], v[0:1]
	v_fma_f64 v[59:60], v[13:14], v[15:16], v[2:3]
	v_fma_f64 v[57:58], v[17:18], v[15:16], -v[0:1]
	buffer_load_dword v0, off, s[64:67], 0 offset:464 ; 4-byte Folded Reload
	buffer_load_dword v1, off, s[64:67], 0 offset:468 ; 4-byte Folded Reload
	;; [unrolled: 1-line block ×16, first 2 shown]
	s_waitcnt vmcnt(14)
	v_fma_f64 v[0:1], v[67:68], s[50:51], v[0:1]
	s_waitcnt vmcnt(12)
	v_fma_f64 v[2:3], v[121:122], s[48:49], v[2:3]
	;; [unrolled: 2-line block ×8, first 2 shown]
	v_add_f64 v[19:20], v[11:12], v[19:20]
	v_add_f64 v[17:18], v[17:18], v[19:20]
	v_add_f64 v[15:16], v[15:16], v[17:18]
	v_add_f64 v[13:14], v[13:14], v[15:16]
	v_add_f64 v[6:7], v[6:7], v[13:14]
	v_add_f64 v[4:5], v[4:5], v[6:7]
	v_add_f64 v[2:3], v[2:3], v[4:5]
	v_add_f64 v[13:14], v[0:1], v[2:3]
	v_add_u32_e32 v0, 34, v8
	v_mul_lo_u32 v4, v69, v0
	v_lshlrev_b32_sdwa v0, v76, v4 dst_sel:DWORD dst_unused:UNUSED_PAD src0_sel:DWORD src1_sel:BYTE_0
	v_bfe_u32 v4, v4, 8, 8
	v_lshl_or_b32 v4, v4, 4, v255
	global_load_dwordx4 v[0:3], v0, s[16:17]
	s_nop 0
	global_load_dwordx4 v[4:7], v4, s[16:17]
	s_nop 0
	buffer_load_dword v17, off, s[64:67], 0 offset:520 ; 4-byte Folded Reload
	buffer_load_dword v18, off, s[64:67], 0 offset:524 ; 4-byte Folded Reload
	;; [unrolled: 1-line block ×16, first 2 shown]
	s_waitcnt vmcnt(16)
	v_mul_f64 v[15:16], v[2:3], v[6:7]
	s_waitcnt vmcnt(14)
	v_fma_f64 v[17:18], v[165:166], s[0:1], -v[17:18]
	s_waitcnt vmcnt(12)
	v_fma_f64 v[19:20], v[169:170], s[6:7], -v[19:20]
	;; [unrolled: 2-line block ×8, first 2 shown]
	v_fma_f64 v[15:16], v[0:1], v[4:5], -v[15:16]
	v_mul_f64 v[0:1], v[0:1], v[6:7]
	v_add_f64 v[31:32], v[9:10], v[31:32]
	v_fma_f64 v[0:1], v[2:3], v[4:5], v[0:1]
	v_add_f64 v[29:30], v[29:30], v[31:32]
	v_add_f64 v[27:28], v[27:28], v[29:30]
	;; [unrolled: 1-line block ×7, first 2 shown]
	v_mul_f64 v[2:3], v[17:18], v[0:1]
	v_mul_f64 v[0:1], v[13:14], v[0:1]
	v_fma_f64 v[63:64], v[13:14], v[15:16], v[2:3]
	v_fma_f64 v[61:62], v[17:18], v[15:16], -v[0:1]
	v_add_u32_e32 v0, 17, v8
	v_mul_lo_u32 v4, v69, v0
	v_lshlrev_b32_sdwa v0, v76, v4 dst_sel:DWORD dst_unused:UNUSED_PAD src0_sel:DWORD src1_sel:BYTE_0
	v_bfe_u32 v4, v4, 8, 8
	v_lshl_or_b32 v4, v4, 4, v255
	global_load_dwordx4 v[0:3], v0, s[16:17]
	s_nop 0
	global_load_dwordx4 v[4:7], v4, s[16:17]
	s_nop 0
	buffer_load_dword v15, off, s[64:67], 0 offset:32 ; 4-byte Folded Reload
	buffer_load_dword v16, off, s[64:67], 0 offset:36 ; 4-byte Folded Reload
	;; [unrolled: 1-line block ×16, first 2 shown]
	s_waitcnt vmcnt(16)
	v_mul_f64 v[13:14], v[2:3], v[6:7]
	s_waitcnt vmcnt(14)
	v_fma_f64 v[15:16], v[67:68], s[40:41], v[15:16]
	s_waitcnt vmcnt(12)
	v_fma_f64 v[17:18], v[121:122], s[36:37], v[17:18]
	;; [unrolled: 2-line block ×8, first 2 shown]
	v_fma_f64 v[13:14], v[0:1], v[4:5], -v[13:14]
	v_mul_f64 v[0:1], v[0:1], v[6:7]
	v_add_f64 v[29:30], v[11:12], v[29:30]
	v_fma_f64 v[0:1], v[2:3], v[4:5], v[0:1]
	buffer_load_dword v2, off, s[64:67], 0 offset:360 ; 4-byte Folded Reload
	buffer_load_dword v3, off, s[64:67], 0 offset:364 ; 4-byte Folded Reload
	;; [unrolled: 1-line block ×6, first 2 shown]
	v_add_f64 v[27:28], v[27:28], v[29:30]
	v_add_f64 v[25:26], v[25:26], v[27:28]
	;; [unrolled: 1-line block ×7, first 2 shown]
	buffer_load_dword v17, off, s[64:67], 0 offset:416 ; 4-byte Folded Reload
	buffer_load_dword v18, off, s[64:67], 0 offset:420 ; 4-byte Folded Reload
	;; [unrolled: 1-line block ×10, first 2 shown]
	s_waitcnt vmcnt(14)
	v_fma_f64 v[2:3], v[165:166], s[42:43], -v[2:3]
	s_waitcnt vmcnt(12)
	v_fma_f64 v[4:5], v[169:170], s[38:39], -v[4:5]
	;; [unrolled: 2-line block ×8, first 2 shown]
	s_movk_i32 s0, 0x227
	v_add_f64 v[25:26], v[9:10], v[25:26]
	v_add_f64 v[23:24], v[23:24], v[25:26]
	;; [unrolled: 1-line block ×8, first 2 shown]
	v_mul_f64 v[4:5], v[0:1], v[2:3]
	v_mul_f64 v[0:1], v[0:1], v[15:16]
	v_fma_f64 v[67:68], v[13:14], v[15:16], v[4:5]
	v_fma_f64 v[65:66], v[13:14], v[2:3], -v[0:1]
	buffer_load_dword v0, off, s[64:67], 0 offset:384 ; 4-byte Folded Reload
	buffer_load_dword v1, off, s[64:67], 0 offset:388 ; 4-byte Folded Reload
	buffer_load_dword v2, off, s[64:67], 0 offset:368 ; 4-byte Folded Reload
	buffer_load_dword v3, off, s[64:67], 0 offset:372 ; 4-byte Folded Reload
	s_waitcnt vmcnt(2)
	v_add_f64 v[0:1], v[11:12], v[0:1]
	s_waitcnt vmcnt(0)
	v_add_f64 v[0:1], v[0:1], v[2:3]
	buffer_load_dword v2, off, s[64:67], 0 offset:352 ; 4-byte Folded Reload
	buffer_load_dword v3, off, s[64:67], 0 offset:356 ; 4-byte Folded Reload
	s_waitcnt vmcnt(0)
	v_add_f64 v[0:1], v[0:1], v[2:3]
	buffer_load_dword v2, off, s[64:67], 0 offset:336 ; 4-byte Folded Reload
	buffer_load_dword v3, off, s[64:67], 0 offset:340 ; 4-byte Folded Reload
	s_waitcnt vmcnt(0)
	v_add_f64 v[0:1], v[0:1], v[2:3]
	buffer_load_dword v2, off, s[64:67], 0 offset:320 ; 4-byte Folded Reload
	buffer_load_dword v3, off, s[64:67], 0 offset:324 ; 4-byte Folded Reload
	s_waitcnt vmcnt(0)
	v_add_f64 v[0:1], v[0:1], v[2:3]
	buffer_load_dword v2, off, s[64:67], 0 offset:296 ; 4-byte Folded Reload
	buffer_load_dword v3, off, s[64:67], 0 offset:300 ; 4-byte Folded Reload
	s_waitcnt vmcnt(0)
	v_add_f64 v[0:1], v[0:1], v[2:3]
	buffer_load_dword v2, off, s[64:67], 0 offset:272 ; 4-byte Folded Reload
	buffer_load_dword v3, off, s[64:67], 0 offset:276 ; 4-byte Folded Reload
	s_waitcnt vmcnt(0)
	v_add_f64 v[0:1], v[0:1], v[2:3]
	buffer_load_dword v2, off, s[64:67], 0 offset:256 ; 4-byte Folded Reload
	buffer_load_dword v3, off, s[64:67], 0 offset:260 ; 4-byte Folded Reload
	s_waitcnt vmcnt(0)
	v_add_f64 v[0:1], v[0:1], v[2:3]
	buffer_load_dword v2, off, s[64:67], 0 offset:248 ; 4-byte Folded Reload
	buffer_load_dword v3, off, s[64:67], 0 offset:252 ; 4-byte Folded Reload
	s_waitcnt vmcnt(0)
	v_add_f64 v[0:1], v[0:1], v[2:3]
	buffer_load_dword v2, off, s[64:67], 0 offset:264 ; 4-byte Folded Reload
	buffer_load_dword v3, off, s[64:67], 0 offset:268 ; 4-byte Folded Reload
	s_waitcnt vmcnt(0)
	v_add_f64 v[0:1], v[0:1], v[2:3]
	buffer_load_dword v2, off, s[64:67], 0 offset:280 ; 4-byte Folded Reload
	buffer_load_dword v3, off, s[64:67], 0 offset:284 ; 4-byte Folded Reload
	s_waitcnt vmcnt(0)
	v_add_f64 v[0:1], v[0:1], v[2:3]
	buffer_load_dword v2, off, s[64:67], 0 offset:288 ; 4-byte Folded Reload
	buffer_load_dword v3, off, s[64:67], 0 offset:292 ; 4-byte Folded Reload
	s_waitcnt vmcnt(0)
	v_add_f64 v[0:1], v[0:1], v[2:3]
	buffer_load_dword v2, off, s[64:67], 0 offset:304 ; 4-byte Folded Reload
	buffer_load_dword v3, off, s[64:67], 0 offset:308 ; 4-byte Folded Reload
	s_waitcnt vmcnt(0)
	v_add_f64 v[0:1], v[0:1], v[2:3]
	buffer_load_dword v2, off, s[64:67], 0 offset:312 ; 4-byte Folded Reload
	buffer_load_dword v3, off, s[64:67], 0 offset:316 ; 4-byte Folded Reload
	s_waitcnt vmcnt(0)
	v_add_f64 v[0:1], v[0:1], v[2:3]
	buffer_load_dword v2, off, s[64:67], 0 offset:328 ; 4-byte Folded Reload
	buffer_load_dword v3, off, s[64:67], 0 offset:332 ; 4-byte Folded Reload
	s_waitcnt vmcnt(0)
	v_add_f64 v[0:1], v[0:1], v[2:3]
	buffer_load_dword v2, off, s[64:67], 0 offset:344 ; 4-byte Folded Reload
	buffer_load_dword v3, off, s[64:67], 0 offset:348 ; 4-byte Folded Reload
	s_waitcnt vmcnt(0)
	v_add_f64 v[0:1], v[0:1], v[2:3]
	v_mul_lo_u32 v2, v69, v8
	v_lshlrev_b32_sdwa v3, v76, v2 dst_sel:DWORD dst_unused:UNUSED_PAD src0_sel:DWORD src1_sel:BYTE_0
	v_bfe_u32 v2, v2, 8, 8
	v_lshl_or_b32 v2, v2, 4, v255
	global_load_dwordx4 v[69:72], v3, s[16:17]
	global_load_dwordx4 v[73:76], v2, s[16:17]
	buffer_load_dword v4, off, s[64:67], 0 offset:224 ; 4-byte Folded Reload
	buffer_load_dword v5, off, s[64:67], 0 offset:228 ; 4-byte Folded Reload
	;; [unrolled: 1-line block ×4, first 2 shown]
	s_waitcnt vmcnt(4)
	v_mul_f64 v[2:3], v[71:72], v[75:76]
	s_waitcnt vmcnt(2)
	v_add_f64 v[4:5], v[9:10], v[4:5]
	v_fma_f64 v[2:3], v[69:70], v[73:74], -v[2:3]
	s_waitcnt vmcnt(0)
	v_add_f64 v[4:5], v[4:5], v[6:7]
	buffer_load_dword v6, off, s[64:67], 0 offset:208 ; 4-byte Folded Reload
	buffer_load_dword v7, off, s[64:67], 0 offset:212 ; 4-byte Folded Reload
	s_waitcnt vmcnt(0)
	v_add_f64 v[4:5], v[4:5], v[6:7]
	buffer_load_dword v6, off, s[64:67], 0 offset:200 ; 4-byte Folded Reload
	buffer_load_dword v7, off, s[64:67], 0 offset:204 ; 4-byte Folded Reload
	;; [unrolled: 4-line block ×10, first 2 shown]
	v_add_f64 v[4:5], v[4:5], v[212:213]
	s_waitcnt vmcnt(0)
	v_add_f64 v[4:5], v[4:5], v[6:7]
	buffer_load_dword v6, off, s[64:67], 0 offset:80 ; 4-byte Folded Reload
	buffer_load_dword v7, off, s[64:67], 0 offset:84 ; 4-byte Folded Reload
	s_waitcnt vmcnt(0)
	v_add_f64 v[4:5], v[4:5], v[6:7]
	buffer_load_dword v6, off, s[64:67], 0 offset:64 ; 4-byte Folded Reload
	buffer_load_dword v7, off, s[64:67], 0 offset:68 ; 4-byte Folded Reload
	;; [unrolled: 4-line block ×3, first 2 shown]
	s_waitcnt vmcnt(0)
	v_add_f64 v[9:10], v[4:5], v[6:7]
	v_mul_f64 v[4:5], v[69:70], v[75:76]
	v_fma_f64 v[11:12], v[71:72], v[73:74], v[4:5]
	v_mul_f64 v[4:5], v[9:10], v[11:12]
	v_fma_f64 v[5:6], v[0:1], v[2:3], v[4:5]
	v_mul_f64 v[0:1], v[0:1], v[11:12]
	v_fma_f64 v[3:4], v[9:10], v[2:3], -v[0:1]
	v_mul_u32_u24_sdwa v0, v211, s0 dst_sel:DWORD dst_unused:UNUSED_PAD src0_sel:WORD_0 src1_sel:DWORD
	s_movk_i32 s0, 0x121
	v_mul_lo_u16_sdwa v0, v0, s0 dst_sel:DWORD dst_unused:UNUSED_PAD src0_sel:WORD_1 src1_sel:DWORD
	v_add_u32_e32 v0, v8, v0
	v_mad_u64_u32 v[7:8], s[0:1], s8, v0, 0
	v_mov_b32_e32 v1, v8
	v_mad_u64_u32 v[1:2], s[0:1], s9, v0, v[1:2]
	s_lshl_b64 s[0:1], s[2:3], 4
	s_add_u32 s0, s12, s0
	v_mov_b32_e32 v8, v1
	v_lshlrev_b64 v[1:2], 4, v[77:78]
	s_addc_u32 s1, s13, s1
	v_add_co_u32_e32 v1, vcc, s0, v1
	v_mov_b32_e32 v9, s1
	v_lshlrev_b64 v[7:8], 4, v[7:8]
	v_addc_co_u32_e32 v2, vcc, v9, v2, vcc
	v_add_co_u32_e32 v7, vcc, v1, v7
	v_addc_co_u32_e32 v8, vcc, v2, v8, vcc
	global_store_dwordx4 v[7:8], v[3:6], off
	s_nop 0
	v_add_u32_e32 v5, 17, v0
	v_mad_u64_u32 v[3:4], s[0:1], s8, v5, 0
	v_mad_u64_u32 v[4:5], s[0:1], s9, v5, v[4:5]
	v_add_u32_e32 v5, 34, v0
	v_lshlrev_b64 v[3:4], 4, v[3:4]
	v_add_co_u32_e32 v3, vcc, v1, v3
	v_addc_co_u32_e32 v4, vcc, v2, v4, vcc
	global_store_dwordx4 v[3:4], v[65:68], off
	v_mad_u64_u32 v[3:4], s[0:1], s8, v5, 0
	v_mad_u64_u32 v[4:5], s[0:1], s9, v5, v[4:5]
	v_add_u32_e32 v5, 51, v0
	v_lshlrev_b64 v[3:4], 4, v[3:4]
	v_add_co_u32_e32 v3, vcc, v1, v3
	v_addc_co_u32_e32 v4, vcc, v2, v4, vcc
	global_store_dwordx4 v[3:4], v[61:64], off
	;; [unrolled: 7-line block ×11, first 2 shown]
	v_mad_u64_u32 v[3:4], s[0:1], s8, v5, 0
	v_mad_u64_u32 v[4:5], s[0:1], s9, v5, v[4:5]
	buffer_load_dword v5, off, s[64:67], 0 offset:400 ; 4-byte Folded Reload
	buffer_load_dword v6, off, s[64:67], 0 offset:404 ; 4-byte Folded Reload
	buffer_load_dword v7, off, s[64:67], 0 offset:408 ; 4-byte Folded Reload
	buffer_load_dword v8, off, s[64:67], 0 offset:412 ; 4-byte Folded Reload
	v_lshlrev_b64 v[3:4], 4, v[3:4]
	v_add_co_u32_e32 v3, vcc, v1, v3
	v_addc_co_u32_e32 v4, vcc, v2, v4, vcc
	s_waitcnt vmcnt(0)
	global_store_dwordx4 v[3:4], v[5:8], off
	s_nop 0
	v_add_u32_e32 v5, 0xdd, v0
	v_mad_u64_u32 v[3:4], s[0:1], s8, v5, 0
	v_mad_u64_u32 v[4:5], s[0:1], s9, v5, v[4:5]
	buffer_load_dword v5, off, s[64:67], 0 offset:232 ; 4-byte Folded Reload
	buffer_load_dword v6, off, s[64:67], 0 offset:236 ; 4-byte Folded Reload
	buffer_load_dword v7, off, s[64:67], 0 offset:240 ; 4-byte Folded Reload
	buffer_load_dword v8, off, s[64:67], 0 offset:244 ; 4-byte Folded Reload
	v_lshlrev_b64 v[3:4], 4, v[3:4]
	v_add_co_u32_e32 v3, vcc, v1, v3
	v_addc_co_u32_e32 v4, vcc, v2, v4, vcc
	s_waitcnt vmcnt(0)
	global_store_dwordx4 v[3:4], v[5:8], off
	s_nop 0
	v_add_u32_e32 v5, 0xee, v0
	v_mad_u64_u32 v[3:4], s[0:1], s8, v5, 0
	v_mad_u64_u32 v[4:5], s[0:1], s9, v5, v[4:5]
	buffer_load_dword v5, off, s[64:67], 0 offset:104 ; 4-byte Folded Reload
	buffer_load_dword v6, off, s[64:67], 0 offset:108 ; 4-byte Folded Reload
	buffer_load_dword v7, off, s[64:67], 0 offset:112 ; 4-byte Folded Reload
	buffer_load_dword v8, off, s[64:67], 0 offset:116 ; 4-byte Folded Reload
	v_lshlrev_b64 v[3:4], 4, v[3:4]
	v_add_co_u32_e32 v3, vcc, v1, v3
	v_addc_co_u32_e32 v4, vcc, v2, v4, vcc
	s_waitcnt vmcnt(0)
	global_store_dwordx4 v[3:4], v[5:8], off
	s_nop 0
	v_add_u32_e32 v5, 0xff, v0
	v_mad_u64_u32 v[3:4], s[0:1], s8, v5, 0
	v_mad_u64_u32 v[4:5], s[0:1], s9, v5, v[4:5]
	buffer_load_dword v5, off, s[64:67], 0 offset:16 ; 4-byte Folded Reload
	buffer_load_dword v6, off, s[64:67], 0 offset:20 ; 4-byte Folded Reload
	buffer_load_dword v7, off, s[64:67], 0 offset:24 ; 4-byte Folded Reload
	buffer_load_dword v8, off, s[64:67], 0 offset:28 ; 4-byte Folded Reload
	v_lshlrev_b64 v[3:4], 4, v[3:4]
	v_add_co_u32_e32 v3, vcc, v1, v3
	v_addc_co_u32_e32 v4, vcc, v2, v4, vcc
	s_waitcnt vmcnt(0)
	global_store_dwordx4 v[3:4], v[5:8], off
	s_nop 0
	v_add_u32_e32 v5, 0x110, v0
	v_mad_u64_u32 v[3:4], s[0:1], s8, v5, 0
	v_mov_b32_e32 v0, v4
	v_mad_u64_u32 v[4:5], s[0:1], s9, v5, v[0:1]
	v_lshlrev_b64 v[3:4], 4, v[3:4]
	v_add_co_u32_e32 v0, vcc, v1, v3
	v_addc_co_u32_e32 v1, vcc, v2, v4, vcc
	buffer_load_dword v2, off, s[64:67], 0  ; 4-byte Folded Reload
	buffer_load_dword v3, off, s[64:67], 0 offset:4 ; 4-byte Folded Reload
	buffer_load_dword v4, off, s[64:67], 0 offset:8 ; 4-byte Folded Reload
	;; [unrolled: 1-line block ×3, first 2 shown]
	s_waitcnt vmcnt(0)
	global_store_dwordx4 v[0:1], v[2:5], off
.LBB0_14:
	s_endpgm
	.section	.rodata,"a",@progbits
	.p2align	6, 0x0
	.amdhsa_kernel fft_rtc_fwd_len289_factors_17_17_wgs_119_tpt_17_dp_ip_CI_sbcc_twdbase8_2step_dirReg_intrinsicRead
		.amdhsa_group_segment_fixed_size 0
		.amdhsa_private_segment_fixed_size 660
		.amdhsa_kernarg_size 96
		.amdhsa_user_sgpr_count 6
		.amdhsa_user_sgpr_private_segment_buffer 1
		.amdhsa_user_sgpr_dispatch_ptr 0
		.amdhsa_user_sgpr_queue_ptr 0
		.amdhsa_user_sgpr_kernarg_segment_ptr 1
		.amdhsa_user_sgpr_dispatch_id 0
		.amdhsa_user_sgpr_flat_scratch_init 0
		.amdhsa_user_sgpr_private_segment_size 0
		.amdhsa_uses_dynamic_stack 0
		.amdhsa_system_sgpr_private_segment_wavefront_offset 1
		.amdhsa_system_sgpr_workgroup_id_x 1
		.amdhsa_system_sgpr_workgroup_id_y 0
		.amdhsa_system_sgpr_workgroup_id_z 0
		.amdhsa_system_sgpr_workgroup_info 0
		.amdhsa_system_vgpr_workitem_id 0
		.amdhsa_next_free_vgpr 256
		.amdhsa_next_free_sgpr 68
		.amdhsa_reserve_vcc 1
		.amdhsa_reserve_flat_scratch 0
		.amdhsa_float_round_mode_32 0
		.amdhsa_float_round_mode_16_64 0
		.amdhsa_float_denorm_mode_32 3
		.amdhsa_float_denorm_mode_16_64 3
		.amdhsa_dx10_clamp 1
		.amdhsa_ieee_mode 1
		.amdhsa_fp16_overflow 0
		.amdhsa_exception_fp_ieee_invalid_op 0
		.amdhsa_exception_fp_denorm_src 0
		.amdhsa_exception_fp_ieee_div_zero 0
		.amdhsa_exception_fp_ieee_overflow 0
		.amdhsa_exception_fp_ieee_underflow 0
		.amdhsa_exception_fp_ieee_inexact 0
		.amdhsa_exception_int_div_zero 0
	.end_amdhsa_kernel
	.text
.Lfunc_end0:
	.size	fft_rtc_fwd_len289_factors_17_17_wgs_119_tpt_17_dp_ip_CI_sbcc_twdbase8_2step_dirReg_intrinsicRead, .Lfunc_end0-fft_rtc_fwd_len289_factors_17_17_wgs_119_tpt_17_dp_ip_CI_sbcc_twdbase8_2step_dirReg_intrinsicRead
                                        ; -- End function
	.section	.AMDGPU.csdata,"",@progbits
; Kernel info:
; codeLenInByte = 21480
; NumSgprs: 72
; NumVgprs: 256
; ScratchSize: 660
; MemoryBound: 0
; FloatMode: 240
; IeeeMode: 1
; LDSByteSize: 0 bytes/workgroup (compile time only)
; SGPRBlocks: 8
; VGPRBlocks: 63
; NumSGPRsForWavesPerEU: 72
; NumVGPRsForWavesPerEU: 256
; Occupancy: 1
; WaveLimiterHint : 1
; COMPUTE_PGM_RSRC2:SCRATCH_EN: 1
; COMPUTE_PGM_RSRC2:USER_SGPR: 6
; COMPUTE_PGM_RSRC2:TRAP_HANDLER: 0
; COMPUTE_PGM_RSRC2:TGID_X_EN: 1
; COMPUTE_PGM_RSRC2:TGID_Y_EN: 0
; COMPUTE_PGM_RSRC2:TGID_Z_EN: 0
; COMPUTE_PGM_RSRC2:TIDIG_COMP_CNT: 0
	.type	__hip_cuid_207f7176997602a6,@object ; @__hip_cuid_207f7176997602a6
	.section	.bss,"aw",@nobits
	.globl	__hip_cuid_207f7176997602a6
__hip_cuid_207f7176997602a6:
	.byte	0                               ; 0x0
	.size	__hip_cuid_207f7176997602a6, 1

	.ident	"AMD clang version 19.0.0git (https://github.com/RadeonOpenCompute/llvm-project roc-6.4.0 25133 c7fe45cf4b819c5991fe208aaa96edf142730f1d)"
	.section	".note.GNU-stack","",@progbits
	.addrsig
	.addrsig_sym __hip_cuid_207f7176997602a6
	.amdgpu_metadata
---
amdhsa.kernels:
  - .args:
      - .actual_access:  read_only
        .address_space:  global
        .offset:         0
        .size:           8
        .value_kind:     global_buffer
      - .address_space:  global
        .offset:         8
        .size:           8
        .value_kind:     global_buffer
      - .offset:         16
        .size:           8
        .value_kind:     by_value
      - .actual_access:  read_only
        .address_space:  global
        .offset:         24
        .size:           8
        .value_kind:     global_buffer
      - .actual_access:  read_only
        .address_space:  global
        .offset:         32
        .size:           8
        .value_kind:     global_buffer
      - .offset:         40
        .size:           8
        .value_kind:     by_value
      - .actual_access:  read_only
        .address_space:  global
        .offset:         48
        .size:           8
        .value_kind:     global_buffer
      - .actual_access:  read_only
        .address_space:  global
        .offset:         56
        .size:           8
        .value_kind:     global_buffer
      - .offset:         64
        .size:           4
        .value_kind:     by_value
      - .actual_access:  read_only
        .address_space:  global
        .offset:         72
        .size:           8
        .value_kind:     global_buffer
      - .actual_access:  read_only
        .address_space:  global
        .offset:         80
        .size:           8
        .value_kind:     global_buffer
      - .address_space:  global
        .offset:         88
        .size:           8
        .value_kind:     global_buffer
    .group_segment_fixed_size: 0
    .kernarg_segment_align: 8
    .kernarg_segment_size: 96
    .language:       OpenCL C
    .language_version:
      - 2
      - 0
    .max_flat_workgroup_size: 119
    .name:           fft_rtc_fwd_len289_factors_17_17_wgs_119_tpt_17_dp_ip_CI_sbcc_twdbase8_2step_dirReg_intrinsicRead
    .private_segment_fixed_size: 660
    .sgpr_count:     72
    .sgpr_spill_count: 0
    .symbol:         fft_rtc_fwd_len289_factors_17_17_wgs_119_tpt_17_dp_ip_CI_sbcc_twdbase8_2step_dirReg_intrinsicRead.kd
    .uniform_work_group_size: 1
    .uses_dynamic_stack: false
    .vgpr_count:     256
    .vgpr_spill_count: 164
    .wavefront_size: 64
amdhsa.target:   amdgcn-amd-amdhsa--gfx906
amdhsa.version:
  - 1
  - 2
...

	.end_amdgpu_metadata
